;; amdgpu-corpus repo=ROCm/rocFFT kind=compiled arch=gfx1030 opt=O3
	.text
	.amdgcn_target "amdgcn-amd-amdhsa--gfx1030"
	.amdhsa_code_object_version 6
	.protected	bluestein_single_fwd_len1960_dim1_sp_op_CI_CI ; -- Begin function bluestein_single_fwd_len1960_dim1_sp_op_CI_CI
	.globl	bluestein_single_fwd_len1960_dim1_sp_op_CI_CI
	.p2align	8
	.type	bluestein_single_fwd_len1960_dim1_sp_op_CI_CI,@function
bluestein_single_fwd_len1960_dim1_sp_op_CI_CI: ; @bluestein_single_fwd_len1960_dim1_sp_op_CI_CI
; %bb.0:
	s_load_dwordx4 s[12:15], s[4:5], 0x28
	v_mul_u32_u24_e32 v1, 0x493, v0
	s_mov_b64 s[22:23], s[2:3]
	s_mov_b64 s[20:21], s[0:1]
	v_mov_b32_e32 v15, 0
	s_add_u32 s20, s20, s7
	v_lshrrev_b32_e32 v1, 16, v1
	s_addc_u32 s21, s21, 0
	s_mov_b32 s0, exec_lo
	v_add_nc_u32_e32 v14, s6, v1
	s_waitcnt lgkmcnt(0)
	v_cmpx_gt_u64_e64 s[12:13], v[14:15]
	s_cbranch_execz .LBB0_23
; %bb.1:
	s_clause 0x1
	s_load_dwordx4 s[8:11], s[4:5], 0x18
	s_load_dwordx2 s[6:7], s[4:5], 0x0
	v_mul_lo_u16 v1, v1, 56
	v_mov_b32_e32 v15, v14
	v_sub_nc_u16 v0, v0, v1
	v_and_b32_e32 v225, 0xffff, v0
	v_lshlrev_b32_e32 v255, 3, v225
	v_or_b32_e32 v188, 0x1c0, v225
	s_waitcnt lgkmcnt(0)
	s_load_dwordx4 s[0:3], s[8:9], 0x0
	s_clause 0x4
	global_load_dwordx2 v[133:134], v255, s[6:7]
	global_load_dwordx2 v[121:122], v255, s[6:7] offset:448
	global_load_dwordx2 v[115:116], v255, s[6:7] offset:896
	;; [unrolled: 1-line block ×4, first 2 shown]
	v_add_co_u32 v0, s8, s6, v255
	v_add_co_ci_u32_e64 v1, null, s7, 0, s8
	v_add_nc_u32_e32 v78, 0x2c00, v255
	v_add_co_u32 v4, vcc_lo, 0x800, v0
	v_add_co_ci_u32_e32 v5, vcc_lo, 0, v1, vcc_lo
	v_add_co_u32 v70, vcc_lo, 0x1800, v0
	v_add_co_ci_u32_e32 v71, vcc_lo, 0, v1, vcc_lo
	;; [unrolled: 2-line block ×3, first 2 shown]
	s_waitcnt lgkmcnt(0)
	v_mad_u64_u32 v[2:3], null, s2, v14, 0
	v_add_co_u32 v6, vcc_lo, 0x1000, v0
	v_add_co_ci_u32_e32 v7, vcc_lo, 0, v1, vcc_lo
	v_add_co_u32 v8, vcc_lo, 0x2000, v0
	v_mad_u64_u32 v[10:11], null, s0, v225, 0
	v_add_co_ci_u32_e32 v9, vcc_lo, 0, v1, vcc_lo
	s_clause 0x1
	global_load_dwordx2 v[253:254], v[4:5], off offset:1872
	global_load_dwordx2 v[251:252], v[70:71], off offset:1696
	buffer_store_dword v15, off, s[20:23], 0 offset:168 ; 4-byte Folded Spill
	buffer_store_dword v16, off, s[20:23], 0 offset:172 ; 4-byte Folded Spill
	v_add_co_u32 v12, vcc_lo, 0x3000, v0
	v_mad_u64_u32 v[14:15], null, s3, v14, v[3:4]
	v_add_co_ci_u32_e32 v13, vcc_lo, 0, v1, vcc_lo
	v_mad_u64_u32 v[15:16], null, s1, v225, v[11:12]
	s_mul_i32 s3, s1, 0x1ea
	s_mul_hi_u32 s8, s0, 0x1ea
	v_mov_b32_e32 v3, v14
	s_mul_i32 s2, s0, 0x1ea
	s_add_i32 s3, s8, s3
	s_mul_hi_u32 s16, s0, 0xffffd3d0
	v_mov_b32_e32 v11, v15
	v_lshlrev_b64 v[2:3], 3, v[2:3]
	s_lshl_b64 s[12:13], s[2:3], 3
	s_mul_i32 s9, s1, 0xffffd3d0
	s_mul_i32 s2, s0, 0xffffd3d0
	v_lshlrev_b64 v[10:11], 3, v[10:11]
	s_sub_i32 s3, s16, s0
	v_add_co_u32 v2, vcc_lo, s14, v2
	v_add_co_ci_u32_e32 v3, vcc_lo, s15, v3, vcc_lo
	s_add_i32 s3, s3, s9
	v_add_co_u32 v10, vcc_lo, v2, v10
	v_add_co_ci_u32_e32 v11, vcc_lo, v3, v11, vcc_lo
	s_clause 0x1
	global_load_dwordx2 v[249:250], v[72:73], off offset:1520
	global_load_dwordx2 v[131:132], v[72:73], off offset:1968
	v_add_co_u32 v14, vcc_lo, v10, s12
	v_add_co_ci_u32_e32 v15, vcc_lo, s13, v11, vcc_lo
	s_clause 0x3
	global_load_dwordx2 v[137:138], v[6:7], off offset:272
	global_load_dwordx2 v[127:128], v[6:7], off offset:720
	;; [unrolled: 1-line block ×4, first 2 shown]
	v_add_co_u32 v16, vcc_lo, v14, s12
	v_add_co_ci_u32_e32 v17, vcc_lo, s13, v15, vcc_lo
	global_load_dwordx2 v[119:120], v[12:13], off offset:368
	v_add_co_u32 v18, vcc_lo, v16, s12
	v_add_co_ci_u32_e32 v19, vcc_lo, s13, v17, vcc_lo
	s_clause 0x1
	global_load_dwordx2 v[10:11], v[10:11], off
	global_load_dwordx2 v[14:15], v[14:15], off
	v_add_co_u32 v20, vcc_lo, v18, s2
	v_add_co_ci_u32_e32 v21, vcc_lo, s3, v19, vcc_lo
	v_add_nc_u32_e32 v79, 0x2400, v255
	v_add_co_u32 v22, vcc_lo, v20, s12
	v_add_co_ci_u32_e32 v23, vcc_lo, s13, v21, vcc_lo
	s_clause 0x2
	global_load_dwordx2 v[16:17], v[16:17], off
	global_load_dwordx2 v[18:19], v[18:19], off
	;; [unrolled: 1-line block ×3, first 2 shown]
	v_add_co_u32 v24, vcc_lo, v22, s12
	v_add_co_ci_u32_e32 v25, vcc_lo, s13, v23, vcc_lo
	global_load_dwordx2 v[22:23], v[22:23], off
	v_add_co_u32 v26, vcc_lo, v24, s12
	v_add_co_ci_u32_e32 v27, vcc_lo, s13, v25, vcc_lo
	global_load_dwordx2 v[24:25], v[24:25], off
	;; [unrolled: 3-line block ×13, first 2 shown]
	v_add_co_u32 v50, vcc_lo, v48, s12
	v_add_co_ci_u32_e32 v51, vcc_lo, s13, v49, vcc_lo
	s_clause 0x1
	global_load_dwordx2 v[125:126], v[6:7], off offset:1168
	global_load_dwordx2 v[109:110], v[6:7], off offset:1616
	global_load_dwordx2 v[48:49], v[48:49], off
	s_clause 0x1
	global_load_dwordx2 v[123:124], v[8:9], off offset:992
	global_load_dwordx2 v[111:112], v[8:9], off offset:1440
	global_load_dwordx2 v[52:53], v[50:51], off
	v_add_co_u32 v6, vcc_lo, v50, s2
	v_add_co_ci_u32_e32 v7, vcc_lo, s3, v51, vcc_lo
	s_clause 0x1
	global_load_dwordx2 v[117:118], v[12:13], off offset:816
	global_load_dwordx2 v[113:114], v[12:13], off offset:1264
	v_add_co_u32 v50, vcc_lo, v6, s12
	v_add_co_ci_u32_e32 v51, vcc_lo, s13, v7, vcc_lo
	global_load_dwordx2 v[54:55], v[6:7], off
	v_add_co_u32 v6, vcc_lo, v50, s12
	v_add_co_ci_u32_e32 v7, vcc_lo, s13, v51, vcc_lo
	global_load_dwordx2 v[105:106], v[4:5], off offset:192
	v_add_co_u32 v56, vcc_lo, v6, s12
	v_add_co_ci_u32_e32 v57, vcc_lo, s13, v7, vcc_lo
	global_load_dwordx2 v[50:51], v[50:51], off
	global_load_dwordx2 v[107:108], v[70:71], off offset:16
	global_load_dwordx2 v[58:59], v[6:7], off
	global_load_dwordx2 v[99:100], v[8:9], off offset:1888
	global_load_dwordx2 v[60:61], v[56:57], off
	v_add_co_u32 v6, vcc_lo, v56, s2
	v_add_co_ci_u32_e32 v7, vcc_lo, s3, v57, vcc_lo
	global_load_dwordx2 v[97:98], v[12:13], off offset:1712
	v_add_co_u32 v8, vcc_lo, v6, s12
	v_add_co_ci_u32_e32 v9, vcc_lo, s13, v7, vcc_lo
	global_load_dwordx2 v[12:13], v[6:7], off
	v_add_co_u32 v6, vcc_lo, v8, s12
	v_add_co_ci_u32_e32 v7, vcc_lo, s13, v9, vcc_lo
	global_load_dwordx2 v[93:94], v[4:5], off offset:640
	v_add_co_u32 v56, vcc_lo, v6, s12
	v_add_co_ci_u32_e32 v57, vcc_lo, s13, v7, vcc_lo
	global_load_dwordx2 v[62:63], v[8:9], off
	global_load_dwordx2 v[95:96], v[70:71], off offset:464
	global_load_dwordx2 v[64:65], v[6:7], off
	global_load_dwordx2 v[91:92], v[72:73], off offset:288
	global_load_dwordx2 v[66:67], v[56:57], off
	v_add_co_u32 v6, vcc_lo, v56, s2
	v_add_co_ci_u32_e32 v7, vcc_lo, s3, v57, vcc_lo
	v_add_co_u32 v8, vcc_lo, 0x3800, v0
	v_add_co_ci_u32_e32 v9, vcc_lo, 0, v1, vcc_lo
	;; [unrolled: 2-line block ×3, first 2 shown]
	global_load_dwordx2 v[87:88], v[8:9], off offset:112
	global_load_dwordx2 v[56:57], v[6:7], off
	global_load_dwordx2 v[89:90], v[4:5], off offset:1088
	global_load_dwordx2 v[68:69], v[0:1], off
	buffer_store_dword v70, off, s[20:23], 0 offset:8 ; 4-byte Folded Spill
	buffer_store_dword v71, off, s[20:23], 0 offset:12 ; 4-byte Folded Spill
	v_add_co_u32 v4, vcc_lo, v0, s12
	v_add_co_ci_u32_e32 v5, vcc_lo, s13, v1, vcc_lo
	v_add_nc_u32_e32 v7, 0x2000, v255
	v_add_co_u32 v0, vcc_lo, v4, s12
	v_add_co_ci_u32_e32 v1, vcc_lo, s13, v5, vcc_lo
	s_mov_b32 s2, 0
	v_add_nc_u32_e32 v80, 0x3400, v255
	v_add_nc_u32_e32 v6, 0x800, v255
	s_waitcnt vmcnt(44)
	v_mul_f32_e32 v76, v11, v134
	v_mul_f32_e32 v77, v10, v134
	s_waitcnt vmcnt(43)
	v_mul_f32_e32 v74, v15, v254
	v_mul_f32_e32 v75, v14, v254
	v_fmac_f32_e32 v76, v10, v133
	v_fmac_f32_e32 v74, v14, v253
	v_fma_f32 v75, v15, v253, -v75
	s_waitcnt vmcnt(42)
	v_mul_f32_e32 v14, v17, v252
	s_waitcnt vmcnt(41)
	v_mul_f32_e32 v10, v19, v250
	v_fmac_f32_e32 v14, v16, v251
	v_fmac_f32_e32 v10, v18, v249
	global_load_dwordx2 v[81:82], v[70:71], off offset:912
	global_load_dwordx2 v[70:71], v[4:5], off
	buffer_store_dword v72, off, s[20:23], 0 ; 4-byte Folded Spill
	buffer_store_dword v73, off, s[20:23], 0 offset:4 ; 4-byte Folded Spill
	v_add_nc_u32_e32 v5, 0x3000, v255
	v_mov_b32_e32 v4, s2
	s_load_dwordx2 s[2:3], s[4:5], 0x38
	v_mov_b32_e32 v189, v4
	v_add_nc_u32_e32 v4, 0x1800, v255
	v_cmp_gt_u64_e32 vcc_lo, 0x1ea, v[188:189]
	global_load_dwordx2 v[83:84], v[72:73], off offset:736
	buffer_store_dword v8, off, s[20:23], 0 offset:16 ; 4-byte Folded Spill
	buffer_store_dword v9, off, s[20:23], 0 offset:20 ; 4-byte Folded Spill
	global_load_dwordx2 v[85:86], v[8:9], off offset:560
	global_load_dwordx2 v[72:73], v[0:1], off
	s_load_dwordx4 s[8:11], s[10:11], 0x0
	buffer_store_dword v133, off, s[20:23], 0 offset:240 ; 4-byte Folded Spill
	buffer_store_dword v134, off, s[20:23], 0 offset:244 ; 4-byte Folded Spill
	ds_write_b64 v255, v[74:75] offset:3920
	s_waitcnt vmcnt(45)
	v_mul_f32_e32 v75, v20, v122
	v_mul_f32_e32 v74, v18, v250
	s_waitcnt vmcnt(40)
	v_mul_f32_e32 v18, v31, v128
	v_add_nc_u32_e32 v8, 0x1000, v255
	v_add_nc_u32_e32 v9, 0x400, v255
	v_fmac_f32_e32 v18, v30, v127
	v_fma_f32 v77, v11, v133, -v77
	v_mul_f32_e32 v11, v16, v252
	v_mul_f32_e32 v16, v21, v122
	v_fma_f32 v15, v17, v251, -v11
	v_fmac_f32_e32 v16, v20, v121
	buffer_store_dword v121, off, s[20:23], 0 offset:192 ; 4-byte Folded Spill
	buffer_store_dword v122, off, s[20:23], 0 offset:196 ; 4-byte Folded Spill
	v_fma_f32 v11, v19, v249, -v74
	v_mul_f32_e32 v19, v26, v132
	ds_write_b64 v255, v[14:15] offset:7840
	v_mul_f32_e32 v14, v23, v138
	v_mul_f32_e32 v20, v29, v116
	ds_write_b64 v255, v[10:11] offset:11760
	v_mul_f32_e32 v11, v22, v138
	v_mul_f32_e32 v10, v25, v136
	v_fmac_f32_e32 v14, v22, v137
	v_fmac_f32_e32 v20, v28, v115
	s_waitcnt vmcnt(39)
	v_mul_f32_e32 v22, v33, v130
	v_fmac_f32_e32 v10, v24, v135
	v_fmac_f32_e32 v22, v32, v129
	v_fma_f32 v17, v21, v121, -v75
	v_mul_f32_e32 v21, v30, v128
	ds_write2_b64 v255, v[76:77], v[16:17] offset1:56
	buffer_store_dword v137, off, s[20:23], 0 offset:256 ; 4-byte Folded Spill
	buffer_store_dword v138, off, s[20:23], 0 offset:260 ; 4-byte Folded Spill
	v_mul_f32_e32 v16, v27, v132
	v_mul_f32_e32 v17, v24, v136
	buffer_store_dword v135, off, s[20:23], 0 offset:248 ; 4-byte Folded Spill
	buffer_store_dword v136, off, s[20:23], 0 offset:252 ; 4-byte Folded Spill
	s_waitcnt vmcnt(31)
	v_mul_f32_e32 v24, v39, v126
	v_fmac_f32_e32 v16, v26, v131
	buffer_store_dword v131, off, s[20:23], 0 offset:232 ; 4-byte Folded Spill
	buffer_store_dword v132, off, s[20:23], 0 offset:236 ; 4-byte Folded Spill
	;; [unrolled: 1-line block ×4, first 2 shown]
	v_fmac_f32_e32 v24, v38, v125
	s_waitcnt vmcnt(22)
	v_mul_f32_e32 v26, v55, v106
	v_fmac_f32_e32 v26, v54, v105
	v_fma_f32 v15, v23, v137, -v11
	v_mul_f32_e32 v23, v28, v116
	buffer_store_dword v115, off, s[20:23], 0 offset:160 ; 4-byte Folded Spill
	buffer_store_dword v116, off, s[20:23], 0 offset:164 ; 4-byte Folded Spill
	v_fma_f32 v11, v25, v135, -v17
	v_fma_f32 v17, v27, v131, -v19
	;; [unrolled: 1-line block ×3, first 2 shown]
	v_mul_f32_e32 v27, v54, v106
	ds_write2_b64 v8, v[14:15], v[18:19] offset0:34 offset1:90
	v_mul_f32_e32 v14, v35, v120
	v_mul_f32_e32 v18, v37, v104
	;; [unrolled: 1-line block ×4, first 2 shown]
	v_fmac_f32_e32 v14, v34, v119
	v_fmac_f32_e32 v18, v36, v103
	v_fma_f32 v21, v29, v115, -v23
	v_mul_f32_e32 v23, v32, v130
	buffer_store_dword v129, off, s[20:23], 0 offset:224 ; 4-byte Folded Spill
	buffer_store_dword v130, off, s[20:23], 0 offset:228 ; 4-byte Folded Spill
	;; [unrolled: 1-line block ×6, first 2 shown]
	v_fma_f32 v23, v33, v129, -v23
	v_fma_f32 v15, v35, v119, -v15
	;; [unrolled: 1-line block ×3, first 2 shown]
	ds_write2_b64 v7, v[10:11], v[22:23] offset0:12 offset1:68
	ds_write2_b64 v78, v[16:17], v[14:15] offset0:118 offset1:174
	v_mul_f32_e32 v10, v41, v124
	v_mul_f32_e32 v14, v43, v118
	;; [unrolled: 1-line block ×3, first 2 shown]
	ds_write2_b64 v255, v[20:21], v[18:19] offset0:112 offset1:168
	v_mul_f32_e32 v15, v40, v124
	buffer_store_dword v125, off, s[20:23], 0 offset:208 ; 4-byte Folded Spill
	buffer_store_dword v126, off, s[20:23], 0 offset:212 ; 4-byte Folded Spill
	v_mul_f32_e32 v17, v42, v118
	v_fmac_f32_e32 v10, v40, v123
	buffer_store_dword v123, off, s[20:23], 0 offset:200 ; 4-byte Folded Spill
	buffer_store_dword v124, off, s[20:23], 0 offset:204 ; 4-byte Folded Spill
	v_fmac_f32_e32 v14, v42, v117
	buffer_store_dword v117, off, s[20:23], 0 offset:176 ; 4-byte Folded Spill
	buffer_store_dword v118, off, s[20:23], 0 offset:180 ; 4-byte Folded Spill
	v_mul_f32_e32 v16, v45, v102
	v_mul_f32_e32 v18, v47, v110
	;; [unrolled: 1-line block ×5, first 2 shown]
	v_fmac_f32_e32 v16, v44, v101
	v_fmac_f32_e32 v18, v46, v109
	v_mul_f32_e32 v21, v48, v112
	v_fmac_f32_e32 v20, v48, v111
	v_mul_f32_e32 v23, v52, v114
	v_fmac_f32_e32 v22, v52, v113
	v_fma_f32 v25, v39, v125, -v11
	v_fma_f32 v11, v41, v123, -v15
	;; [unrolled: 1-line block ×3, first 2 shown]
	v_mul_f32_e32 v17, v44, v102
	buffer_store_dword v101, off, s[20:23], 0 offset:104 ; 4-byte Folded Spill
	buffer_store_dword v102, off, s[20:23], 0 offset:108 ; 4-byte Folded Spill
	;; [unrolled: 1-line block ×8, first 2 shown]
	v_fma_f32 v17, v45, v101, -v17
	v_fma_f32 v19, v47, v109, -v19
	;; [unrolled: 1-line block ×4, first 2 shown]
	ds_write2_b64 v8, v[24:25], v[18:19] offset0:146 offset1:202
	buffer_store_dword v105, off, s[20:23], 0 offset:120 ; 4-byte Folded Spill
	buffer_store_dword v106, off, s[20:23], 0 offset:124 ; 4-byte Folded Spill
	ds_write2_b64 v7, v[10:11], v[20:21] offset0:124 offset1:180
	ds_write2_b64 v5, v[14:15], v[22:23] offset0:102 offset1:158
	s_waitcnt vmcnt(20)
	v_mul_f32_e32 v10, v51, v108
	s_waitcnt vmcnt(18)
	v_mul_f32_e32 v14, v59, v100
	;; [unrolled: 2-line block ×4, first 2 shown]
	v_mul_f32_e32 v11, v50, v108
	v_mul_f32_e32 v15, v58, v100
	v_fmac_f32_e32 v10, v50, v107
	v_fmac_f32_e32 v14, v58, v99
	v_mul_f32_e32 v19, v12, v94
	v_mul_f32_e32 v21, v62, v96
	v_fmac_f32_e32 v18, v12, v93
	v_fmac_f32_e32 v20, v62, v95
	s_waitcnt vmcnt(10)
	v_mul_f32_e32 v12, v65, v92
	s_waitcnt vmcnt(8)
	v_mul_f32_e32 v22, v67, v88
	v_mul_f32_e32 v23, v66, v88
	v_fmac_f32_e32 v12, v64, v91
	v_fmac_f32_e32 v22, v66, v87
	v_fma_f32 v27, v55, v105, -v27
	ds_write2_b64 v9, v[16:17], v[26:27] offset0:96 offset1:152
	v_mul_f32_e32 v16, v61, v98
	buffer_store_dword v107, off, s[20:23], 0 offset:128 ; 4-byte Folded Spill
	buffer_store_dword v108, off, s[20:23], 0 offset:132 ; 4-byte Folded Spill
	;; [unrolled: 1-line block ×4, first 2 shown]
	v_mul_f32_e32 v17, v60, v98
	v_fmac_f32_e32 v16, v60, v97
	buffer_store_dword v97, off, s[20:23], 0 offset:88 ; 4-byte Folded Spill
	buffer_store_dword v98, off, s[20:23], 0 offset:92 ; 4-byte Folded Spill
	;; [unrolled: 1-line block ×6, first 2 shown]
	v_fma_f32 v11, v51, v107, -v11
	v_fma_f32 v15, v59, v99, -v15
	;; [unrolled: 1-line block ×5, first 2 shown]
	v_mul_f32_e32 v13, v64, v92
	ds_write2_b64 v4, v[10:11], v[20:21] offset0:2 offset1:58
	buffer_store_dword v91, off, s[20:23], 0 offset:64 ; 4-byte Folded Spill
	buffer_store_dword v92, off, s[20:23], 0 offset:68 ; 4-byte Folded Spill
	;; [unrolled: 1-line block ×4, first 2 shown]
	s_waitcnt vmcnt(6)
	v_mul_f32_e32 v10, v57, v90
	v_mul_f32_e32 v11, v56, v90
	v_fmac_f32_e32 v10, v56, v89
	v_fma_f32 v13, v65, v91, -v13
	v_fma_f32 v23, v67, v87, -v23
	ds_write2_b64 v79, v[14:15], v[12:13] offset0:108 offset1:164
	s_waitcnt vmcnt(4)
	v_mul_f32_e32 v12, v69, v82
	s_waitcnt vmcnt(2)
	v_mul_f32_e32 v14, v71, v84
	ds_write2_b64 v80, v[16:17], v[22:23] offset0:86 offset1:142
	s_waitcnt vmcnt(0)
	v_mul_f32_e32 v16, v73, v86
	buffer_store_dword v89, off, s[20:23], 0 offset:56 ; 4-byte Folded Spill
	buffer_store_dword v90, off, s[20:23], 0 offset:60 ; 4-byte Folded Spill
	v_mul_f32_e32 v13, v68, v82
	v_fmac_f32_e32 v12, v68, v81
	buffer_store_dword v81, off, s[20:23], 0 offset:24 ; 4-byte Folded Spill
	buffer_store_dword v82, off, s[20:23], 0 offset:28 ; 4-byte Folded Spill
	v_mul_f32_e32 v15, v70, v84
	v_fmac_f32_e32 v14, v70, v83
	;; [unrolled: 4-line block ×3, first 2 shown]
	buffer_store_dword v85, off, s[20:23], 0 offset:40 ; 4-byte Folded Spill
	buffer_store_dword v86, off, s[20:23], 0 offset:44 ; 4-byte Folded Spill
	v_fma_f32 v11, v57, v89, -v11
	v_fma_f32 v13, v69, v81, -v13
	;; [unrolled: 1-line block ×4, first 2 shown]
	ds_write2_b64 v6, v[18:19], v[10:11] offset0:80 offset1:136
	ds_write_b64 v255, v[12:13] offset:7056
	ds_write_b64 v255, v[14:15] offset:10976
	;; [unrolled: 1-line block ×3, first 2 shown]
	s_and_saveexec_b32 s14, vcc_lo
	s_cbranch_execz .LBB0_3
; %bb.2:
	s_clause 0x1
	buffer_load_dword v14, off, s[20:23], 0 offset:8
	buffer_load_dword v15, off, s[20:23], 0 offset:12
	v_mad_u64_u32 v[10:11], null, s0, v188, 0
	v_mad_u64_u32 v[0:1], null, 0xffffe320, s0, v[0:1]
	s_mul_i32 s15, s1, 0xffffe320
	s_sub_i32 s0, s15, s0
	v_mad_u64_u32 v[11:12], null, s1, v188, v[11:12]
	v_add_nc_u32_e32 v1, s0, v1
	v_add_co_u32 v12, s0, v0, s12
	v_add_co_ci_u32_e64 v13, s0, s13, v1, s0
	v_lshlrev_b64 v[10:11], 3, v[10:11]
	s_waitcnt vmcnt(0)
	global_load_dwordx2 v[14:15], v[14:15], off offset:1360
	s_clause 0x1
	buffer_load_dword v16, off, s[20:23], 0
	buffer_load_dword v17, off, s[20:23], 0 offset:4
	s_waitcnt vmcnt(0)
	global_load_dwordx2 v[16:17], v[16:17], off offset:1184
	global_load_dwordx2 v[0:1], v[0:1], off
	global_load_dwordx2 v[18:19], v[12:13], off
	v_add_co_u32 v12, s0, v12, s12
	v_add_co_ci_u32_e64 v13, s0, s13, v13, s0
	v_add_co_u32 v2, s0, v2, v10
	v_lshlrev_b32_e32 v10, 3, v188
	v_add_co_ci_u32_e64 v3, s0, v3, v11, s0
	global_load_dwordx2 v[10:11], v10, s[6:7]
	s_clause 0x1
	buffer_load_dword v20, off, s[20:23], 0 offset:16
	buffer_load_dword v21, off, s[20:23], 0 offset:20
	s_waitcnt vmcnt(0)
	global_load_dwordx2 v[20:21], v[20:21], off offset:1008
	global_load_dwordx2 v[12:13], v[12:13], off
	global_load_dwordx2 v[2:3], v[2:3], off
	v_mul_f32_e32 v23, v0, v15
	v_mul_f32_e32 v22, v1, v15
	;; [unrolled: 1-line block ×3, first 2 shown]
	v_fma_f32 v23, v1, v14, -v23
	v_mul_f32_e32 v1, v18, v17
	v_fmac_f32_e32 v22, v0, v14
	v_fmac_f32_e32 v15, v18, v16
	v_fma_f32 v16, v19, v16, -v1
	s_waitcnt vmcnt(1)
	v_mul_f32_e32 v0, v13, v21
	s_waitcnt vmcnt(0)
	v_mul_f32_e32 v17, v3, v11
	v_mul_f32_e32 v11, v2, v11
	;; [unrolled: 1-line block ×3, first 2 shown]
	v_fmac_f32_e32 v0, v12, v20
	v_fmac_f32_e32 v17, v2, v10
	v_fma_f32 v18, v3, v10, -v11
	v_fma_f32 v1, v13, v20, -v14
	ds_write_b64 v255, v[22:23] offset:7504
	ds_write_b64 v255, v[15:16] offset:11424
	;; [unrolled: 1-line block ×4, first 2 shown]
.LBB0_3:
	s_or_b32 exec_lo, exec_lo, s14
	v_add_nc_u32_e32 v0, 0xc00, v255
	v_add_nc_u32_e32 v1, 0x1c00, v255
	;; [unrolled: 1-line block ×3, first 2 shown]
	s_waitcnt lgkmcnt(0)
	s_waitcnt_vscnt null, 0x0
	s_barrier
	buffer_gl0_inv
	ds_read2_b64 v[52:55], v255 offset1:56
	ds_read2_b64 v[48:51], v0 offset0:106 offset1:162
	ds_read2_b64 v[60:63], v1 offset0:84 offset1:140
	;; [unrolled: 1-line block ×4, first 2 shown]
	v_add_nc_u32_e32 v0, 0x1400, v255
	ds_read2_b64 v[36:39], v8 offset0:90 offset1:146
	ds_read2_b64 v[44:47], v7 offset0:68 offset1:124
	;; [unrolled: 1-line block ×6, first 2 shown]
	v_add_nc_u32_e32 v8, 0x3800, v255
	ds_read2_b64 v[28:31], v5 offset0:158 offset1:214
	ds_read2_b64 v[0:3], v6 offset0:80 offset1:136
	;; [unrolled: 1-line block ×5, first 2 shown]
	s_load_dwordx2 s[4:5], s[4:5], 0x8
                                        ; implicit-def: $vgpr68
                                        ; implicit-def: $vgpr70
                                        ; implicit-def: $vgpr66
                                        ; implicit-def: $vgpr64
	s_and_saveexec_b32 s0, vcc_lo
	s_cbranch_execz .LBB0_5
; %bb.4:
	ds_read_b64 v[64:65], v255 offset:3584
	ds_read_b64 v[66:67], v255 offset:7504
	;; [unrolled: 1-line block ×4, first 2 shown]
.LBB0_5:
	s_or_b32 exec_lo, exec_lo, s0
	v_add_co_u32 v87, s0, v225, 56
	v_add_co_ci_u32_e64 v72, null, 0, 0, s0
	v_add_co_u32 v88, s0, 0x118, v225
	v_add_co_ci_u32_e64 v72, null, 0, 0, s0
	;; [unrolled: 2-line block ×4, first 2 shown]
	s_waitcnt lgkmcnt(0)
	v_sub_f32_e32 v62, v54, v62
	v_sub_f32_e32 v63, v55, v63
	;; [unrolled: 1-line block ×8, first 2 shown]
	v_fma_f32 v59, v54, 2.0, -v62
	v_fma_f32 v73, v55, 2.0, -v63
	;; [unrolled: 1-line block ×6, first 2 shown]
	v_sub_f32_e32 v50, v60, v57
	v_add_f32_e32 v51, v61, v56
	v_sub_f32_e32 v56, v59, v54
	v_sub_f32_e32 v57, v73, v55
	;; [unrolled: 1-line block ×8, first 2 shown]
	v_fma_f32 v52, v52, 2.0, -v60
	v_fma_f32 v53, v53, 2.0, -v61
	;; [unrolled: 1-line block ×6, first 2 shown]
	v_add_f32_e32 v59, v63, v72
	v_fma_f32 v72, v32, 2.0, -v44
	v_fma_f32 v32, v36, 2.0, -v40
	;; [unrolled: 1-line block ×4, first 2 shown]
	v_sub_f32_e32 v47, v35, v47
	v_sub_f32_e32 v42, v39, v43
	v_fma_f32 v43, v34, 2.0, -v46
	v_fma_f32 v37, v38, 2.0, -v74
	v_sub_f32_e32 v32, v72, v32
	v_sub_f32_e32 v33, v73, v33
	v_fma_f32 v75, v35, 2.0, -v47
	v_fma_f32 v38, v39, 2.0, -v42
	v_sub_f32_e32 v34, v44, v41
	v_add_f32_e32 v35, v45, v40
	v_sub_f32_e32 v40, v43, v37
	v_fma_f32 v36, v72, 2.0, -v32
	v_sub_f32_e32 v41, v75, v38
	v_fma_f32 v37, v73, 2.0, -v33
	v_fma_f32 v38, v44, 2.0, -v34
	;; [unrolled: 1-line block ×3, first 2 shown]
	v_sub_f32_e32 v72, v20, v24
	v_sub_f32_e32 v24, v16, v28
	v_add_f32_e32 v43, v47, v74
	v_sub_f32_e32 v28, v21, v25
	v_sub_f32_e32 v25, v17, v29
	;; [unrolled: 1-line block ×6, first 2 shown]
	v_fma_f32 v20, v20, 2.0, -v72
	v_fma_f32 v29, v22, 2.0, -v73
	v_fma_f32 v16, v16, 2.0, -v24
	v_fma_f32 v22, v18, 2.0, -v27
	v_sub_f32_e32 v18, v72, v25
	v_fma_f32 v30, v23, 2.0, -v74
	v_fma_f32 v23, v19, 2.0, -v26
	v_add_f32_e32 v19, v28, v24
	v_sub_f32_e32 v24, v29, v22
	v_fma_f32 v22, v72, 2.0, -v18
	v_sub_f32_e32 v12, v0, v12
	v_sub_f32_e32 v72, v4, v8
	;; [unrolled: 1-line block ×3, first 2 shown]
	v_fma_f32 v39, v45, 2.0, -v35
	v_fma_f32 v45, v75, 2.0, -v41
	;; [unrolled: 1-line block ×4, first 2 shown]
	v_sub_f32_e32 v13, v1, v13
	v_sub_f32_e32 v75, v5, v9
	;; [unrolled: 1-line block ×3, first 2 shown]
	v_fma_f32 v17, v17, 2.0, -v25
	v_sub_f32_e32 v8, v0, v4
	v_sub_f32_e32 v25, v30, v23
	;; [unrolled: 1-line block ×3, first 2 shown]
	v_add_f32_e32 v27, v74, v27
	v_fma_f32 v1, v1, 2.0, -v13
	v_fma_f32 v4, v0, 2.0, -v8
	;; [unrolled: 1-line block ×3, first 2 shown]
	v_sub_f32_e32 v2, v7, v11
	v_fma_f32 v5, v5, 2.0, -v75
	v_sub_f32_e32 v77, v6, v10
	v_fma_f32 v78, v3, 2.0, -v15
	;; [unrolled: 2-line block ×4, first 2 shown]
	v_fma_f32 v23, v28, 2.0, -v19
	v_fma_f32 v28, v29, 2.0, -v24
	;; [unrolled: 1-line block ×5, first 2 shown]
	v_sub_f32_e32 v9, v1, v5
	v_fma_f32 v5, v6, 2.0, -v77
	v_sub_f32_e32 v73, v78, v3
	v_sub_f32_e32 v74, v14, v2
	;; [unrolled: 1-line block ×4, first 2 shown]
	v_add_f32_e32 v75, v15, v77
	v_add_co_u32 v86, null, 0x70, v225
	v_add_co_u32 v84, null, 0xa8, v225
	v_fma_f32 v52, v52, 2.0, -v48
	v_fma_f32 v53, v53, 2.0, -v49
	v_add_f32_e32 v11, v13, v72
	v_sub_f32_e32 v72, v0, v5
	v_fma_f32 v77, v78, 2.0, -v73
	v_fma_f32 v78, v14, 2.0, -v74
	v_lshlrev_b32_e32 v14, 5, v225
	v_add_co_u32 v85, null, 0xe0, v225
	v_fma_f32 v62, v62, 2.0, -v58
	v_fma_f32 v63, v63, 2.0, -v59
	v_sub_f32_e32 v42, v46, v42
	v_sub_f32_e32 v16, v20, v16
	;; [unrolled: 1-line block ×3, first 2 shown]
	v_fma_f32 v79, v15, 2.0, -v75
	v_lshlrev_b32_e32 v15, 5, v87
	v_fma_f32 v5, v1, 2.0, -v9
	v_fma_f32 v76, v0, 2.0, -v72
	v_sub_f32_e32 v0, v64, v70
	v_sub_f32_e32 v1, v65, v71
	;; [unrolled: 1-line block ×4, first 2 shown]
	s_barrier
	buffer_gl0_inv
	ds_write_b128 v14, v[52:55]
	v_lshlrev_b32_e32 v52, 5, v86
	ds_write_b128 v14, v[48:51] offset:16
	ds_write_b128 v15, v[60:63]
	v_lshlrev_b32_e32 v14, 5, v84
	v_fma_f32 v46, v46, 2.0, -v42
	v_fma_f32 v47, v47, 2.0, -v43
	;; [unrolled: 1-line block ×4, first 2 shown]
	v_lshlrev_b32_e32 v226, 5, v85
	v_fma_f32 v6, v12, 2.0, -v10
	v_fma_f32 v7, v13, 2.0, -v11
	v_sub_f32_e32 v12, v0, v3
	v_add_f32_e32 v13, v2, v1
	buffer_store_dword v15, off, s[20:23], 0 offset:264 ; 4-byte Folded Spill
	ds_write_b128 v15, v[56:59] offset:16
	ds_write_b128 v52, v[36:39]
	buffer_store_dword v52, off, s[20:23], 0 offset:268 ; 4-byte Folded Spill
	ds_write_b128 v52, v[32:35] offset:16
	ds_write_b128 v14, v[44:47]
	v_lshlrev_b32_e32 v15, 5, v88
	buffer_store_dword v14, off, s[20:23], 0 offset:272 ; 4-byte Folded Spill
	ds_write_b128 v14, v[40:43] offset:16
	ds_write_b128 v226, v[20:23]
	ds_write_b128 v226, v[16:19] offset:16
	v_lshlrev_b32_e32 v227, 5, v90
	v_lshlrev_b32_e32 v14, 5, v89
	ds_write_b128 v15, v[28:31]
	buffer_store_dword v15, off, s[20:23], 0 offset:280 ; 4-byte Folded Spill
	ds_write_b128 v15, v[24:27] offset:16
	ds_write_b128 v227, v[4:7]
	ds_write_b128 v227, v[8:11] offset:16
	ds_write_b128 v14, v[76:79]
	buffer_store_dword v14, off, s[20:23], 0 offset:288 ; 4-byte Folded Spill
	ds_write_b128 v14, v[72:75] offset:16
	s_and_saveexec_b32 s0, vcc_lo
	s_cbranch_execz .LBB0_7
; %bb.6:
	v_fma_f32 v4, v65, 2.0, -v1
	v_fma_f32 v3, v67, 2.0, -v3
	;; [unrolled: 1-line block ×4, first 2 shown]
	v_sub_f32_e32 v11, v4, v3
	v_fma_f32 v3, v1, 2.0, -v13
	v_sub_f32_e32 v10, v5, v2
	v_fma_f32 v2, v0, 2.0, -v12
	v_fma_f32 v1, v4, 2.0, -v11
	v_lshlrev_b32_e32 v4, 5, v188
	v_fma_f32 v0, v5, 2.0, -v10
	ds_write_b128 v4, v[0:3]
	ds_write_b128 v4, v[10:13] offset:16
.LBB0_7:
	s_or_b32 exec_lo, exec_lo, s0
	v_and_b32_e32 v34, 3, v225
	s_waitcnt lgkmcnt(0)
	s_waitcnt_vscnt null, 0x0
	s_barrier
	buffer_gl0_inv
	v_add_nc_u32_e32 v32, 0x400, v255
	v_mul_u32_u24_e32 v0, 6, v34
	v_add_nc_u32_e32 v27, 0x1000, v255
	v_add_nc_u32_e32 v26, 0x1800, v255
	;; [unrolled: 1-line block ×4, first 2 shown]
	v_lshlrev_b32_e32 v0, 3, v0
	v_add_nc_u32_e32 v28, 0x3000, v255
	v_add_nc_u32_e32 v30, 0x800, v255
	;; [unrolled: 1-line block ×4, first 2 shown]
	s_clause 0x2
	global_load_dwordx4 v[8:11], v0, s[4:5]
	global_load_dwordx4 v[4:7], v0, s[4:5] offset:16
	global_load_dwordx4 v[0:3], v0, s[4:5] offset:32
	ds_read2_b64 v[22:25], v255 offset1:56
	ds_read2_b64 v[14:17], v32 offset0:96 offset1:152
	ds_read2_b64 v[18:21], v255 offset0:112 offset1:168
	;; [unrolled: 1-line block ×5, first 2 shown]
	v_add_nc_u32_e32 v35, 0x1c00, v255
	ds_read2_b64 v[59:62], v29 offset0:64 offset1:120
	ds_read_b64 v[111:112], v255 offset:15232
	ds_read2_b64 v[63:66], v28 offset0:144 offset1:200
	ds_read2_b64 v[67:70], v30 offset0:80 offset1:136
	;; [unrolled: 1-line block ×6, first 2 shown]
	ds_read2_b64 v[95:98], v58 offset1:56
	ds_read2_b64 v[99:102], v30 offset0:192 offset1:248
	ds_read2_b64 v[103:106], v35 offset0:112 offset1:168
	ds_read2_b64 v[107:110], v28 offset0:32 offset1:88
	s_waitcnt vmcnt(0) lgkmcnt(0)
	s_barrier
	buffer_gl0_inv
	v_cmp_gt_u16_e64 s0, 28, v225
	v_mul_f32_e32 v83, v16, v9
	v_mul_f32_e32 v114, v45, v11
	;; [unrolled: 1-line block ×38, first 2 shown]
	v_fmac_f32_e32 v83, v17, v8
	v_fmac_f32_e32 v114, v46, v10
	;; [unrolled: 1-line block ×8, first 2 shown]
	v_mul_f32_e32 v41, v99, v9
	v_mul_f32_e32 v152, v107, v1
	;; [unrolled: 1-line block ×5, first 2 shown]
	v_fma_f32 v16, v16, v8, -v57
	v_fma_f32 v17, v45, v10, -v113
	;; [unrolled: 1-line block ×3, first 2 shown]
	v_fmac_f32_e32 v116, v52, v4
	v_fma_f32 v46, v53, v6, -v117
	v_fmac_f32_e32 v118, v54, v6
	v_fma_f32 v51, v61, v0, -v119
	v_fma_f32 v52, v63, v2, -v121
	;; [unrolled: 1-line block ×5, first 2 shown]
	v_fmac_f32_e32 v128, v72, v4
	v_fma_f32 v54, v55, v6, -v129
	v_fmac_f32_e32 v130, v56, v6
	v_fma_f32 v55, v75, v0, -v131
	v_fma_f32 v56, v65, v2, -v133
	;; [unrolled: 1-line block ×3, first 2 shown]
	v_fmac_f32_e32 v136, v70, v8
	v_fma_f32 v61, v79, v10, -v137
	v_fmac_f32_e32 v138, v80, v10
	v_fma_f32 v62, v73, v4, -v139
	;; [unrolled: 2-line block ×5, first 2 shown]
	v_fmac_f32_e32 v146, v96, v2
	v_fmac_f32_e32 v36, v50, v10
	v_fmac_f32_e32 v38, v60, v6
	v_add_f32_e32 v50, v83, v122
	v_add_f32_e32 v60, v114, v120
	;; [unrolled: 1-line block ×4, first 2 shown]
	v_mul_f32_e32 v147, v100, v9
	v_mul_f32_e32 v42, v81, v11
	;; [unrolled: 1-line block ×16, first 2 shown]
	v_fmac_f32_e32 v41, v100, v8
	v_fmac_f32_e32 v152, v108, v0
	v_fmac_f32_e32 v35, v102, v8
	v_fma_f32 v100, v49, v10, -v156
	v_fma_f32 v102, v59, v6, -v158
	v_add_f32_e32 v49, v16, v52
	v_sub_f32_e32 v16, v16, v52
	v_sub_f32_e32 v52, v83, v122
	v_add_f32_e32 v59, v17, v51
	v_sub_f32_e32 v17, v17, v51
	v_sub_f32_e32 v51, v114, v120
	v_add_f32_e32 v66, v45, v46
	v_add_f32_e32 v67, v116, v118
	v_sub_f32_e32 v45, v46, v45
	v_sub_f32_e32 v46, v118, v116
	v_add_f32_e32 v68, v53, v56
	v_sub_f32_e32 v53, v53, v56
	v_sub_f32_e32 v56, v124, v134
	;; [unrolled: 3-line block ×3, first 2 shown]
	v_add_f32_e32 v72, v48, v54
	v_add_f32_e32 v73, v128, v130
	v_sub_f32_e32 v48, v54, v48
	v_sub_f32_e32 v54, v130, v128
	v_add_f32_e32 v74, v57, v65
	v_add_f32_e32 v75, v136, v146
	v_sub_f32_e32 v57, v57, v65
	v_add_f32_e32 v76, v61, v64
	v_add_f32_e32 v77, v138, v144
	v_sub_f32_e32 v61, v61, v64
	v_sub_f32_e32 v64, v138, v144
	v_add_f32_e32 v78, v62, v63
	v_add_f32_e32 v79, v140, v142
	v_sub_f32_e32 v62, v63, v62
	v_sub_f32_e32 v63, v142, v140
	v_add_f32_e32 v83, v60, v50
	v_add_f32_e32 v108, v71, v69
	v_mul_f32_e32 v148, v82, v11
	v_fma_f32 v91, v99, v8, -v147
	v_fmac_f32_e32 v42, v82, v10
	v_fma_f32 v82, v103, v4, -v149
	v_fmac_f32_e32 v43, v104, v4
	v_fma_f32 v92, v93, v6, -v150
	v_fmac_f32_e32 v44, v94, v6
	v_fma_f32 v93, v107, v0, -v151
	v_fma_f32 v94, v97, v2, -v153
	v_fmac_f32_e32 v154, v98, v2
	v_fma_f32 v99, v101, v8, -v155
	v_fma_f32 v101, v105, v4, -v157
	v_fmac_f32_e32 v37, v106, v4
	v_fma_f32 v103, v109, v0, -v159
	v_fmac_f32_e32 v39, v110, v0
	;; [unrolled: 2-line block ×3, first 2 shown]
	v_sub_f32_e32 v65, v136, v146
	v_add_f32_e32 v80, v59, v49
	v_sub_f32_e32 v95, v59, v49
	v_sub_f32_e32 v96, v60, v50
	;; [unrolled: 1-line block ×6, first 2 shown]
	v_add_f32_e32 v97, v45, v17
	v_add_f32_e32 v98, v46, v51
	v_sub_f32_e32 v105, v45, v17
	v_sub_f32_e32 v106, v46, v51
	;; [unrolled: 1-line block ×4, first 2 shown]
	v_add_f32_e32 v17, v70, v68
	v_sub_f32_e32 v109, v70, v68
	v_sub_f32_e32 v110, v71, v69
	;; [unrolled: 1-line block ×6, first 2 shown]
	v_add_f32_e32 v111, v48, v47
	v_add_f32_e32 v112, v54, v55
	v_sub_f32_e32 v113, v48, v47
	v_sub_f32_e32 v114, v54, v55
	;; [unrolled: 1-line block ×4, first 2 shown]
	v_add_f32_e32 v115, v76, v74
	v_add_f32_e32 v116, v77, v75
	v_sub_f32_e32 v117, v76, v74
	v_sub_f32_e32 v118, v77, v75
	;; [unrolled: 1-line block ×4, first 2 shown]
	v_add_f32_e32 v119, v62, v61
	v_add_f32_e32 v120, v63, v64
	v_sub_f32_e32 v121, v62, v61
	v_sub_f32_e32 v61, v61, v57
	v_add_f32_e32 v67, v67, v83
	v_add_f32_e32 v73, v73, v108
	v_sub_f32_e32 v45, v16, v45
	v_sub_f32_e32 v46, v52, v46
	;; [unrolled: 1-line block ×10, first 2 shown]
	v_add_f32_e32 v66, v66, v80
	v_add_f32_e32 v80, v97, v16
	;; [unrolled: 1-line block ×3, first 2 shown]
	v_mul_f32_e32 v49, 0x3f4a47b2, v49
	v_mul_f32_e32 v50, 0x3f4a47b2, v50
	;; [unrolled: 1-line block ×8, first 2 shown]
	v_add_f32_e32 v72, v72, v17
	v_add_f32_e32 v53, v111, v53
	;; [unrolled: 1-line block ×3, first 2 shown]
	v_mul_f32_e32 v68, 0x3f4a47b2, v68
	v_mul_f32_e32 v69, 0x3f4a47b2, v69
	v_mul_f32_e32 v108, 0x3d64c772, v70
	v_mul_f32_e32 v111, 0x3d64c772, v71
	v_mul_f32_e32 v112, 0xbf08b237, v113
	v_mul_f32_e32 v113, 0xbf08b237, v114
	v_mul_f32_e32 v114, 0x3f5ff5aa, v47
	v_mul_f32_e32 v124, 0x3f5ff5aa, v55
	v_add_f32_e32 v78, v78, v115
	v_add_f32_e32 v79, v79, v116
	;; [unrolled: 1-line block ×4, first 2 shown]
	v_mul_f32_e32 v65, 0x3f4a47b2, v74
	v_mul_f32_e32 v74, 0x3f4a47b2, v75
	;; [unrolled: 1-line block ×4, first 2 shown]
	v_add_f32_e32 v17, v23, v67
	v_add_f32_e32 v23, v25, v73
	v_mul_f32_e32 v75, 0x3d64c772, v76
	v_mul_f32_e32 v116, 0x3d64c772, v77
	;; [unrolled: 1-line block ×4, first 2 shown]
	v_add_f32_e32 v16, v22, v66
	v_fmamk_f32 v59, v59, 0x3d64c772, v49
	v_fmamk_f32 v60, v60, 0x3d64c772, v50
	v_fma_f32 v83, 0x3f3bfb3b, v95, -v83
	v_fma_f32 v97, 0x3f3bfb3b, v96, -v97
	;; [unrolled: 1-line block ×4, first 2 shown]
	v_fmamk_f32 v95, v45, 0x3eae86e6, v98
	v_fmamk_f32 v96, v46, 0x3eae86e6, v105
	v_fma_f32 v51, 0x3f5ff5aa, v51, -v105
	v_fma_f32 v105, 0xbeae86e6, v45, -v106
	v_fma_f32 v106, 0xbeae86e6, v46, -v123
	v_add_f32_e32 v22, v24, v72
	v_fmamk_f32 v24, v70, 0x3d64c772, v68
	v_fmamk_f32 v25, v71, 0x3d64c772, v69
	v_fma_f32 v45, 0x3f3bfb3b, v109, -v108
	v_fma_f32 v46, 0x3f3bfb3b, v110, -v111
	;; [unrolled: 1-line block ×4, first 2 shown]
	v_fmamk_f32 v70, v48, 0x3eae86e6, v112
	v_fmamk_f32 v71, v54, 0x3eae86e6, v113
	v_fma_f32 v108, 0x3f5ff5aa, v55, -v113
	v_fma_f32 v109, 0xbeae86e6, v48, -v114
	;; [unrolled: 1-line block ×3, first 2 shown]
	v_add_f32_e32 v18, v18, v78
	v_add_f32_e32 v19, v19, v79
	v_fmamk_f32 v48, v77, 0x3d64c772, v74
	v_fmamk_f32 v111, v62, 0x3eae86e6, v119
	v_fma_f32 v77, 0x3f5ff5aa, v61, -v119
	v_fma_f32 v114, 0xbeae86e6, v62, -v121
	v_fmamk_f32 v61, v67, 0xbf955555, v17
	v_fmamk_f32 v62, v73, 0xbf955555, v23
	v_fma_f32 v98, 0x3f5ff5aa, v107, -v98
	v_fma_f32 v107, 0x3f5ff5aa, v47, -v112
	v_fmamk_f32 v47, v76, 0x3d64c772, v65
	v_fma_f32 v54, 0x3f3bfb3b, v117, -v75
	v_fma_f32 v75, 0x3f3bfb3b, v118, -v116
	;; [unrolled: 1-line block ×5, first 2 shown]
	v_fmamk_f32 v55, v66, 0xbf955555, v16
	v_fmac_f32_e32 v95, 0x3ee1c552, v80
	v_fmac_f32_e32 v96, 0x3ee1c552, v52
	;; [unrolled: 1-line block ×4, first 2 shown]
	v_fmamk_f32 v52, v72, 0xbf955555, v22
	v_fmac_f32_e32 v70, 0x3ee1c552, v53
	v_fmac_f32_e32 v71, 0x3ee1c552, v56
	v_fmac_f32_e32 v108, 0x3ee1c552, v56
	v_fmac_f32_e32 v110, 0x3ee1c552, v56
	v_fmamk_f32 v72, v78, 0xbf955555, v18
	v_fmamk_f32 v73, v79, 0xbf955555, v19
	v_add_f32_e32 v56, v60, v61
	v_add_f32_e32 v78, v25, v62
	v_fma_f32 v81, v81, v10, -v148
	v_fma_f32 v74, 0xbf3bfb3b, v118, -v74
	v_fmac_f32_e32 v107, 0x3ee1c552, v53
	v_fmac_f32_e32 v109, 0x3ee1c552, v53
	v_add_f32_e32 v53, v59, v55
	v_add_f32_e32 v59, v83, v55
	;; [unrolled: 1-line block ×6, first 2 shown]
	v_sub_f32_e32 v25, v56, v95
	v_add_f32_e32 v54, v95, v56
	v_sub_f32_e32 v56, v78, v70
	v_add_f32_e32 v68, v70, v78
	v_add_f32_e32 v78, v75, v73
	;; [unrolled: 1-line block ×3, first 2 shown]
	v_fmac_f32_e32 v77, 0x3ee1c552, v57
	v_fmac_f32_e32 v116, 0x3ee1c552, v115
	;; [unrolled: 1-line block ×3, first 2 shown]
	v_fmamk_f32 v112, v63, 0x3eae86e6, v120
	v_fmac_f32_e32 v98, 0x3ee1c552, v80
	v_fmac_f32_e32 v105, 0x3ee1c552, v80
	v_add_f32_e32 v63, v45, v52
	v_add_f32_e32 v79, v47, v72
	;; [unrolled: 1-line block ×5, first 2 shown]
	v_sub_f32_e32 v47, v59, v51
	v_add_f32_e32 v49, v51, v59
	v_sub_f32_e32 v51, v55, v106
	v_sub_f32_e32 v53, v53, v96
	v_add_f32_e32 v55, v71, v67
	v_sub_f32_e32 v67, v67, v71
	v_add_f32_e32 v96, v74, v73
	v_fmac_f32_e32 v111, 0x3ee1c552, v57
	v_fmac_f32_e32 v114, 0x3ee1c552, v57
	v_add_f32_e32 v71, v116, v95
	v_sub_f32_e32 v73, v83, v113
	v_add_f32_e32 v74, v77, v78
	v_add_f32_e32 v75, v113, v83
	v_sub_f32_e32 v76, v78, v77
	v_sub_f32_e32 v77, v95, v116
	v_add_f32_e32 v57, v91, v94
	v_add_f32_e32 v83, v41, v154
	v_sub_f32_e32 v91, v91, v94
	v_add_f32_e32 v94, v81, v93
	v_add_f32_e32 v95, v42, v152
	v_add_f32_e32 v60, v97, v61
	v_add_f32_e32 v61, v50, v61
	v_add_f32_e32 v64, v46, v62
	v_sub_f32_e32 v72, v96, v114
	v_add_f32_e32 v78, v114, v96
	v_sub_f32_e32 v41, v41, v154
	v_sub_f32_e32 v81, v81, v93
	;; [unrolled: 1-line block ×3, first 2 shown]
	v_add_f32_e32 v93, v82, v92
	v_add_f32_e32 v96, v43, v44
	v_sub_f32_e32 v82, v92, v82
	v_sub_f32_e32 v43, v44, v43
	v_add_f32_e32 v44, v94, v57
	v_add_f32_e32 v92, v95, v83
	;; [unrolled: 1-line block ×3, first 2 shown]
	v_sub_f32_e32 v46, v61, v105
	v_add_f32_e32 v48, v98, v60
	v_sub_f32_e32 v50, v60, v98
	v_add_f32_e32 v52, v105, v61
	;; [unrolled: 2-line block ×3, first 2 shown]
	v_add_f32_e32 v63, v108, v63
	v_sub_f32_e32 v64, v64, v107
	v_sub_f32_e32 v97, v94, v57
	;; [unrolled: 1-line block ×7, first 2 shown]
	v_add_f32_e32 v105, v82, v81
	v_add_f32_e32 v106, v43, v42
	v_sub_f32_e32 v107, v82, v81
	v_sub_f32_e32 v108, v43, v42
	;; [unrolled: 1-line block ×3, first 2 shown]
	v_add_f32_e32 v44, v93, v44
	v_add_f32_e32 v92, v96, v92
	v_sub_f32_e32 v42, v42, v41
	v_sub_f32_e32 v82, v91, v82
	;; [unrolled: 1-line block ×3, first 2 shown]
	v_add_f32_e32 v91, v105, v91
	v_add_f32_e32 v41, v106, v41
	;; [unrolled: 1-line block ×4, first 2 shown]
	v_mul_f32_e32 v57, 0x3f4a47b2, v57
	v_mul_f32_e32 v83, 0x3f4a47b2, v83
	;; [unrolled: 1-line block ×8, first 2 shown]
	v_fmamk_f32 v44, v44, 0xbf955555, v20
	v_fmamk_f32 v92, v92, 0xbf955555, v21
	;; [unrolled: 1-line block ×4, first 2 shown]
	v_fma_f32 v93, 0x3f3bfb3b, v97, -v93
	v_fma_f32 v96, 0x3f3bfb3b, v98, -v96
	;; [unrolled: 1-line block ×4, first 2 shown]
	v_fmamk_f32 v98, v82, 0x3eae86e6, v105
	v_fmamk_f32 v97, v43, 0x3eae86e6, v106
	v_fma_f32 v81, 0x3f5ff5aa, v81, -v105
	v_fma_f32 v105, 0x3f5ff5aa, v42, -v106
	v_fma_f32 v82, 0xbeae86e6, v82, -v107
	v_fma_f32 v106, 0xbeae86e6, v43, -v108
	v_add_f32_e32 v107, v94, v44
	v_add_f32_e32 v94, v96, v92
	;; [unrolled: 1-line block ×4, first 2 shown]
	v_fmac_f32_e32 v81, 0x3ee1c552, v91
	v_fmac_f32_e32 v106, 0x3ee1c552, v41
	;; [unrolled: 1-line block ×3, first 2 shown]
	v_add_f32_e32 v108, v95, v92
	v_add_f32_e32 v93, v93, v44
	v_fmac_f32_e32 v98, 0x3ee1c552, v91
	v_fmac_f32_e32 v97, 0x3ee1c552, v41
	;; [unrolled: 1-line block ×3, first 2 shown]
	v_add_f32_e32 v43, v106, v57
	v_sub_f32_e32 v44, v83, v82
	v_add_f32_e32 v92, v81, v94
	v_sub_f32_e32 v94, v94, v81
	v_sub_f32_e32 v95, v57, v106
	v_add_f32_e32 v96, v82, v83
	v_add_f32_e32 v57, v99, v104
	;; [unrolled: 1-line block ×3, first 2 shown]
	v_sub_f32_e32 v82, v99, v104
	v_sub_f32_e32 v35, v35, v40
	v_add_f32_e32 v40, v100, v103
	v_add_f32_e32 v83, v36, v39
	v_sub_f32_e32 v99, v100, v103
	v_sub_f32_e32 v36, v36, v39
	v_add_f32_e32 v39, v101, v102
	v_add_f32_e32 v100, v37, v38
	v_sub_f32_e32 v101, v102, v101
	v_sub_f32_e32 v37, v38, v37
	v_add_f32_e32 v41, v97, v107
	v_sub_f32_e32 v42, v108, v98
	v_sub_f32_e32 v91, v93, v105
	v_add_f32_e32 v93, v105, v93
	v_sub_f32_e32 v97, v107, v97
	v_add_f32_e32 v98, v98, v108
	v_add_f32_e32 v38, v40, v57
	;; [unrolled: 1-line block ×3, first 2 shown]
	v_sub_f32_e32 v103, v40, v57
	v_sub_f32_e32 v104, v83, v81
	;; [unrolled: 1-line block ×6, first 2 shown]
	v_add_f32_e32 v105, v101, v99
	v_add_f32_e32 v106, v37, v36
	v_sub_f32_e32 v107, v101, v99
	v_sub_f32_e32 v108, v37, v36
	;; [unrolled: 1-line block ×5, first 2 shown]
	v_add_f32_e32 v38, v39, v38
	v_add_f32_e32 v39, v100, v102
	v_sub_f32_e32 v36, v36, v35
	v_add_f32_e32 v82, v105, v82
	v_add_f32_e32 v35, v106, v35
	v_mul_f32_e32 v57, 0x3f4a47b2, v57
	v_mul_f32_e32 v81, 0x3f4a47b2, v81
	;; [unrolled: 1-line block ×7, first 2 shown]
	v_add_f32_e32 v14, v14, v38
	v_add_f32_e32 v15, v15, v39
	v_mul_f32_e32 v108, 0x3f5ff5aa, v36
	v_fmamk_f32 v40, v40, 0x3d64c772, v57
	v_fmamk_f32 v83, v83, 0x3d64c772, v81
	v_fma_f32 v100, 0x3f3bfb3b, v103, -v100
	v_fma_f32 v102, 0x3f3bfb3b, v104, -v102
	;; [unrolled: 1-line block ×4, first 2 shown]
	v_fmamk_f32 v103, v101, 0x3eae86e6, v105
	v_fmamk_f32 v104, v37, 0x3eae86e6, v106
	v_fma_f32 v105, 0x3f5ff5aa, v99, -v105
	v_fma_f32 v99, 0x3f5ff5aa, v36, -v106
	;; [unrolled: 1-line block ×3, first 2 shown]
	v_fmamk_f32 v38, v38, 0xbf955555, v14
	v_fmamk_f32 v39, v39, 0xbf955555, v15
	v_fma_f32 v101, 0xbeae86e6, v37, -v108
	v_fmac_f32_e32 v103, 0x3ee1c552, v82
	v_fmac_f32_e32 v105, 0x3ee1c552, v82
	;; [unrolled: 1-line block ×3, first 2 shown]
	v_lshrrev_b32_e32 v82, 2, v225
	v_add_f32_e32 v100, v100, v38
	v_add_f32_e32 v102, v102, v39
	;; [unrolled: 1-line block ×4, first 2 shown]
	v_fmac_f32_e32 v99, 0x3ee1c552, v35
	v_fmac_f32_e32 v101, 0x3ee1c552, v35
	v_mul_u32_u24_e32 v82, 28, v82
	v_add_f32_e32 v107, v40, v38
	v_add_f32_e32 v83, v83, v39
	v_sub_f32_e32 v38, v81, v106
	v_add_f32_e32 v37, v101, v57
	v_sub_f32_e32 v39, v100, v99
	v_add_f32_e32 v40, v105, v102
	v_add_f32_e32 v99, v99, v100
	v_sub_f32_e32 v100, v102, v105
	v_sub_f32_e32 v101, v57, v101
	v_add_f32_e32 v102, v106, v81
	v_or_b32_e32 v57, v82, v34
	v_lshrrev_b32_e32 v81, 2, v87
	v_sub_f32_e32 v36, v83, v103
	v_add_f32_e32 v83, v103, v83
	v_add_f32_e32 v59, v110, v65
	v_lshlrev_b32_e32 v103, 3, v57
	v_mul_u32_u24_e32 v57, 28, v81
	v_lshrrev_b32_e32 v81, 2, v86
	v_sub_f32_e32 v60, v66, v109
	v_fmac_f32_e32 v112, 0x3ee1c552, v115
	ds_write2_b64 v103, v[16:17], v[24:25] offset1:4
	v_or_b32_e32 v16, v57, v34
	v_mul_u32_u24_e32 v17, 28, v81
	v_lshrrev_b32_e32 v24, 2, v84
	ds_write2_b64 v103, v[45:46], v[47:48] offset0:8 offset1:12
	ds_write2_b64 v103, v[49:50], v[51:52] offset0:16 offset1:20
	v_lshlrev_b32_e32 v25, 3, v16
	v_or_b32_e32 v16, v17, v34
	v_lshrrev_b32_e32 v17, 2, v85
	buffer_store_dword v103, off, s[20:23], 0 offset:292 ; 4-byte Folded Spill
	ds_write_b64 v103, v[53:54] offset:192
	v_mul_u32_u24_e32 v24, 28, v24
	ds_write2_b64 v25, v[22:23], v[55:56] offset1:4
	ds_write2_b64 v25, v[59:60], v[61:62] offset0:8 offset1:12
	v_lshlrev_b32_e32 v22, 3, v16
	v_mul_u32_u24_e32 v16, 28, v17
	v_fmac_f32_e32 v104, 0x3ee1c552, v35
	v_or_b32_e32 v17, v24, v34
	v_sub_f32_e32 v65, v65, v110
	v_add_f32_e32 v66, v109, v66
	v_or_b32_e32 v16, v16, v34
	v_add_f32_e32 v69, v112, v79
	v_sub_f32_e32 v70, v80, v111
	v_sub_f32_e32 v79, v79, v112
	v_add_f32_e32 v80, v111, v80
	v_sub_f32_e32 v82, v107, v104
	v_lshlrev_b32_e32 v17, 3, v17
	v_lshlrev_b32_e32 v16, 3, v16
	v_add_f32_e32 v35, v104, v107
	ds_write2_b64 v25, v[63:64], v[65:66] offset0:16 offset1:20
	buffer_store_dword v25, off, s[20:23], 0 offset:304 ; 4-byte Folded Spill
	ds_write_b64 v25, v[67:68] offset:192
	ds_write2_b64 v22, v[18:19], v[69:70] offset1:4
	ds_write2_b64 v22, v[71:72], v[73:74] offset0:8 offset1:12
	ds_write2_b64 v22, v[75:76], v[77:78] offset0:16 offset1:20
	buffer_store_dword v22, off, s[20:23], 0 offset:308 ; 4-byte Folded Spill
	ds_write_b64 v22, v[79:80] offset:192
	ds_write2_b64 v17, v[20:21], v[41:42] offset1:4
	ds_write2_b64 v17, v[43:44], v[91:92] offset0:8 offset1:12
	;; [unrolled: 5-line block ×3, first 2 shown]
	ds_write2_b64 v16, v[99:100], v[101:102] offset0:16 offset1:20
	buffer_store_dword v16, off, s[20:23], 0 offset:296 ; 4-byte Folded Spill
	ds_write_b64 v16, v[82:83] offset:192
	s_waitcnt lgkmcnt(0)
	s_waitcnt_vscnt null, 0x0
	s_barrier
	buffer_gl0_inv
	ds_read2_b64 v[14:17], v255 offset1:56
	ds_read2_b64 v[22:25], v26 offset0:128 offset1:212
	ds_read2_b64 v[50:53], v33 offset0:12 offset1:68
	;; [unrolled: 1-line block ×5, first 2 shown]
	v_add_nc_u32_e32 v32, 0x2c00, v255
	ds_read2_b64 v[78:81], v31 offset0:108 offset1:164
	ds_read2_b64 v[54:57], v30 offset0:80 offset1:136
	ds_read2_b64 v[74:77], v29 offset0:92 offset1:148
	ds_read2_b64 v[38:41], v30 offset0:192 offset1:248
	ds_read2_b64 v[70:73], v32 offset0:76 offset1:132
	ds_read2_b64 v[34:37], v27 offset0:48 offset1:104
	ds_read2_b64 v[66:69], v28 offset0:60 offset1:116
	ds_read2_b64 v[30:33], v27 offset0:160 offset1:216
	ds_read2_b64 v[62:65], v28 offset0:172 offset1:228
	ds_read2_b64 v[26:29], v26 offset0:16 offset1:72
	ds_read2_b64 v[58:61], v58 offset0:28 offset1:84
	v_lshlrev_b32_e32 v103, 2, v225
	v_lshlrev_b32_e32 v104, 2, v87
	;; [unrolled: 1-line block ×5, first 2 shown]
	s_and_saveexec_b32 s1, s0
	s_cbranch_execz .LBB0_9
; %bb.8:
	ds_read_b64 v[82:83], v255 offset:7616
	ds_read_b64 v[12:13], v255 offset:15456
.LBB0_9:
	s_or_b32 exec_lo, exec_lo, s1
	v_mov_b32_e32 v108, 0x4925
	v_lshrrev_b16 v91, 2, v88
	v_lshrrev_b16 v92, 2, v90
	;; [unrolled: 1-line block ×4, first 2 shown]
	v_add_nc_u16 v106, v225, 0x1f8
	v_mul_u32_u24_sdwa v91, v91, v108 dst_sel:DWORD dst_unused:UNUSED_PAD src0_sel:WORD_0 src1_sel:DWORD
	v_mul_u32_u24_sdwa v92, v92, v108 dst_sel:DWORD dst_unused:UNUSED_PAD src0_sel:WORD_0 src1_sel:DWORD
	v_add_nc_u16 v107, v225, 0x230
	v_mov_b32_e32 v105, 3
	v_add_nc_u16 v114, v225, 0x310
	v_lshrrev_b32_e32 v96, 17, v91
	v_lshrrev_b32_e32 v94, 17, v92
	v_mul_u32_u24_sdwa v91, v93, v108 dst_sel:DWORD dst_unused:UNUSED_PAD src0_sel:WORD_0 src1_sel:DWORD
	v_mul_u32_u24_sdwa v92, v95, v108 dst_sel:DWORD dst_unused:UNUSED_PAD src0_sel:WORD_0 src1_sel:DWORD
	v_lshrrev_b16 v95, 2, v106
	v_mul_lo_u16 v97, v96, 28
	v_mul_lo_u16 v98, v94, 28
	v_lshrrev_b32_e32 v93, 17, v91
	v_lshrrev_b16 v109, 2, v107
	v_lshrrev_b32_e32 v91, 17, v92
	v_sub_nc_u16 v99, v88, v97
	v_sub_nc_u16 v98, v90, v98
	v_mul_u32_u24_sdwa v88, v95, v108 dst_sel:DWORD dst_unused:UNUSED_PAD src0_sel:WORD_0 src1_sel:DWORD
	v_mul_lo_u16 v90, v93, 28
	v_mul_u32_u24_sdwa v92, v109, v108 dst_sel:DWORD dst_unused:UNUSED_PAD src0_sel:WORD_0 src1_sel:DWORD
	v_lshlrev_b32_sdwa v95, v105, v99 dst_sel:DWORD dst_unused:UNUSED_PAD src0_sel:DWORD src1_sel:WORD_0
	v_lshlrev_b32_sdwa v109, v105, v98 dst_sel:DWORD dst_unused:UNUSED_PAD src0_sel:DWORD src1_sel:WORD_0
	v_mul_lo_u16 v110, v91, 28
	v_sub_nc_u16 v97, v89, v90
	v_lshrrev_b32_e32 v89, 17, v88
	v_lshrrev_b32_e32 v88, 17, v92
	s_clause 0x1
	global_load_dwordx2 v[191:192], v95, s[4:5] offset:192
	global_load_dwordx2 v[184:185], v109, s[4:5] offset:192
	v_mul_lo_u16 v90, v89, 28
	v_sub_nc_u16 v92, v106, v90
	v_lshlrev_b32_sdwa v106, v105, v92 dst_sel:DWORD dst_unused:UNUSED_PAD src0_sel:DWORD src1_sel:WORD_0
	global_load_dwordx2 v[186:187], v106, s[4:5] offset:192
	v_sub_nc_u16 v95, v188, v110
	v_mul_lo_u16 v110, v88, 28
	v_lshlrev_b32_sdwa v109, v105, v97 dst_sel:DWORD dst_unused:UNUSED_PAD src0_sel:DWORD src1_sel:WORD_0
	v_lshlrev_b32_sdwa v111, v105, v95 dst_sel:DWORD dst_unused:UNUSED_PAD src0_sel:DWORD src1_sel:WORD_0
	v_sub_nc_u16 v90, v107, v110
	global_load_dwordx2 v[189:190], v109, s[4:5] offset:192
	v_add_nc_u16 v110, v225, 0x2d8
	global_load_dwordx2 v[182:183], v111, s[4:5] offset:192
	v_lshlrev_b32_sdwa v107, v105, v90 dst_sel:DWORD dst_unused:UNUSED_PAD src0_sel:DWORD src1_sel:WORD_0
	v_lshrrev_b16 v116, 2, v110
	global_load_dwordx2 v[193:194], v107, s[4:5] offset:192
	v_add_nc_u16 v109, v225, 0x268
	v_mul_u32_u24_sdwa v116, v116, v108 dst_sel:DWORD dst_unused:UNUSED_PAD src0_sel:WORD_0 src1_sel:DWORD
	v_lshrrev_b16 v106, 2, v109
	v_lshrrev_b32_e32 v116, 17, v116
	v_mul_u32_u24_sdwa v106, v106, v108 dst_sel:DWORD dst_unused:UNUSED_PAD src0_sel:WORD_0 src1_sel:DWORD
	v_lshrrev_b32_e32 v106, 17, v106
	v_mul_lo_u16 v107, v106, 28
	v_sub_nc_u16 v107, v109, v107
	v_lshlrev_b32_sdwa v109, v105, v107 dst_sel:DWORD dst_unused:UNUSED_PAD src0_sel:DWORD src1_sel:WORD_0
	global_load_dwordx2 v[195:196], v109, s[4:5] offset:192
	v_lshrrev_b16 v109, 2, v85
	v_mul_u32_u24_sdwa v109, v109, v108 dst_sel:DWORD dst_unused:UNUSED_PAD src0_sel:WORD_0 src1_sel:DWORD
	v_lshrrev_b32_e32 v112, 17, v109
	v_mul_lo_u16 v109, v112, 28
	v_sub_nc_u16 v113, v85, v109
	v_add_nc_u16 v109, v225, 0x2a0
	v_lshlrev_b32_sdwa v111, v105, v113 dst_sel:DWORD dst_unused:UNUSED_PAD src0_sel:DWORD src1_sel:WORD_0
	v_lshrrev_b16 v115, 2, v109
	global_load_dwordx2 v[209:210], v111, s[4:5] offset:192
	v_mul_u32_u24_sdwa v115, v115, v108 dst_sel:DWORD dst_unused:UNUSED_PAD src0_sel:WORD_0 src1_sel:DWORD
	v_lshrrev_b32_e32 v115, 17, v115
	s_waitcnt vmcnt(7) lgkmcnt(10)
	v_mul_f32_e32 v111, v79, v192
	v_mul_f32_e32 v117, v78, v192
	s_waitcnt vmcnt(6)
	v_mul_f32_e32 v118, v81, v185
	v_mul_f32_e32 v119, v80, v185
	v_fma_f32 v78, v78, v191, -v111
	v_fmac_f32_e32 v117, v79, v191
	v_fma_f32 v79, v80, v184, -v118
	v_fmac_f32_e32 v119, v81, v184
	s_waitcnt vmcnt(4) lgkmcnt(8)
	v_mul_f32_e32 v80, v75, v190
	v_mul_f32_e32 v81, v74, v190
	s_waitcnt vmcnt(3)
	v_mul_f32_e32 v111, v77, v183
	v_mul_f32_e32 v118, v76, v183
	v_fma_f32 v74, v74, v189, -v80
	v_fmac_f32_e32 v81, v75, v189
	v_fma_f32 v75, v76, v182, -v111
	v_fmac_f32_e32 v118, v77, v182
	s_waitcnt lgkmcnt(6)
	v_mul_f32_e32 v77, v70, v187
	s_waitcnt vmcnt(2)
	v_mul_f32_e32 v80, v73, v194
	v_mul_f32_e32 v111, v72, v194
	;; [unrolled: 1-line block ×3, first 2 shown]
	v_fmac_f32_e32 v77, v71, v186
	v_fma_f32 v71, v72, v193, -v80
	v_fmac_f32_e32 v111, v73, v193
	v_lshrrev_b16 v72, 2, v114
	v_add_nc_u16 v73, v225, 0x348
	v_fma_f32 v70, v70, v186, -v76
	v_mul_lo_u16 v76, v115, 28
	v_mul_u32_u24_sdwa v72, v72, v108 dst_sel:DWORD dst_unused:UNUSED_PAD src0_sel:WORD_0 src1_sel:DWORD
	v_lshrrev_b16 v80, 2, v73
	v_sub_nc_u16 v120, v109, v76
	v_mul_lo_u16 v76, v116, 28
	v_lshrrev_b32_e32 v121, 17, v72
	v_mul_u32_u24_sdwa v72, v80, v108 dst_sel:DWORD dst_unused:UNUSED_PAD src0_sel:WORD_0 src1_sel:DWORD
	v_sub_nc_u16 v122, v110, v76
	v_mul_lo_u16 v76, v121, 28
	v_lshrrev_b32_e32 v123, 17, v72
	v_sub_nc_u16 v114, v114, v76
	v_mul_lo_u16 v72, v123, 28
	v_sub_nc_u16 v124, v73, v72
	s_waitcnt vmcnt(1) lgkmcnt(4)
	v_mul_f32_e32 v72, v67, v196
	v_mul_f32_e32 v73, v66, v196
	v_fma_f32 v72, v66, v195, -v72
	v_lshlrev_b32_sdwa v66, v105, v120 dst_sel:DWORD dst_unused:UNUSED_PAD src0_sel:DWORD src1_sel:WORD_0
	v_fmac_f32_e32 v73, v67, v195
	v_sub_f32_e32 v67, v36, v72
	global_load_dwordx2 v[205:206], v66, s[4:5] offset:192
	v_lshlrev_b32_sdwa v66, v105, v122 dst_sel:DWORD dst_unused:UNUSED_PAD src0_sel:DWORD src1_sel:WORD_0
	v_fma_f32 v36, v36, 2.0, -v67
	global_load_dwordx2 v[203:204], v66, s[4:5] offset:192
	v_lshlrev_b32_sdwa v66, v105, v114 dst_sel:DWORD dst_unused:UNUSED_PAD src0_sel:DWORD src1_sel:WORD_0
	global_load_dwordx2 v[199:200], v66, s[4:5] offset:192
	v_lshlrev_b32_sdwa v66, v105, v124 dst_sel:DWORD dst_unused:UNUSED_PAD src0_sel:DWORD src1_sel:WORD_0
	global_load_dwordx2 v[201:202], v66, s[4:5] offset:192
	s_waitcnt vmcnt(3)
	v_mul_f32_e32 v66, v69, v206
	v_mul_f32_e32 v80, v68, v206
	v_fma_f32 v76, v68, v205, -v66
	s_waitcnt vmcnt(2) lgkmcnt(2)
	v_mul_f32_e32 v66, v63, v204
	v_mul_f32_e32 v110, v62, v204
	v_fmac_f32_e32 v80, v69, v205
	v_sub_f32_e32 v68, v37, v73
	v_sub_f32_e32 v69, v30, v76
	v_fma_f32 v109, v62, v203, -v66
	s_waitcnt vmcnt(1)
	v_mul_f32_e32 v62, v65, v200
	v_fmac_f32_e32 v110, v63, v203
	v_mul_f32_e32 v126, v64, v200
	v_sub_f32_e32 v66, v35, v111
	v_fma_f32 v37, v37, 2.0, -v68
	v_fma_f32 v125, v64, v199, -v62
	v_or_b32_e32 v62, 0x380, v225
	v_add_nc_u16 v64, v225, 0x3b8
	v_fmac_f32_e32 v126, v65, v199
	s_waitcnt vmcnt(0) lgkmcnt(0)
	v_mul_f32_e32 v129, v58, v202
	v_sub_f32_e32 v72, v33, v110
	v_lshrrev_b16 v63, 2, v62
	v_lshrrev_b16 v65, 2, v64
	v_sub_f32_e32 v73, v26, v125
	v_fmac_f32_e32 v129, v59, v201
	v_fma_f32 v35, v35, 2.0, -v66
	v_mul_u32_u24_sdwa v63, v63, v108 dst_sel:DWORD dst_unused:UNUSED_PAD src0_sel:WORD_0 src1_sel:DWORD
	v_mul_u32_u24_sdwa v65, v65, v108 dst_sel:DWORD dst_unused:UNUSED_PAD src0_sel:WORD_0 src1_sel:DWORD
	v_fma_f32 v30, v30, 2.0, -v69
	v_sub_f32_e32 v76, v29, v129
	v_fma_f32 v33, v33, 2.0, -v72
	v_lshrrev_b32_e32 v127, 17, v63
	v_fma_f32 v26, v26, 2.0, -v73
	v_fma_f32 v29, v29, 2.0, -v76
	v_mul_lo_u16 v63, v127, 28
	v_sub_nc_u16 v128, v62, v63
	v_lshrrev_b32_e32 v62, 17, v65
	v_sub_f32_e32 v65, v34, v71
	v_sub_f32_e32 v71, v32, v109
	v_mul_lo_u16 v62, v62, 28
	v_fma_f32 v34, v34, 2.0, -v65
	v_fma_f32 v32, v32, 2.0, -v71
	v_sub_nc_u16 v63, v64, v62
	v_mul_f32_e32 v62, v59, v202
	v_lshrrev_b16 v64, 2, v84
	buffer_store_dword v63, off, s[20:23], 0 offset:392 ; 4-byte Folded Spill
	v_fma_f32 v108, v58, v201, -v62
	v_lshlrev_b32_sdwa v58, v105, v128 dst_sel:DWORD dst_unused:UNUSED_PAD src0_sel:DWORD src1_sel:WORD_0
	v_and_b32_e32 v64, 63, v64
	global_load_dwordx2 v[207:208], v58, s[4:5] offset:192
	v_lshlrev_b32_sdwa v58, v105, v63 dst_sel:DWORD dst_unused:UNUSED_PAD src0_sel:DWORD src1_sel:WORD_0
	v_lshrrev_b16 v63, 2, v86
	v_mul_lo_u16 v64, v64, 37
	global_load_dwordx2 v[197:198], v58, s[4:5] offset:192
	v_and_b32_e32 v63, 63, v63
	v_lshrrev_b16 v133, 8, v64
	v_mul_lo_u16 v63, v63, 37
	v_mul_lo_u16 v64, v133, 28
	v_sub_nc_u16 v64, v84, v64
	v_and_b32_e32 v135, 0xff, v64
	v_sub_f32_e32 v64, v41, v77
	v_fma_f32 v41, v41, 2.0, -v64
	s_waitcnt vmcnt(1)
	v_mul_f32_e32 v59, v61, v208
	v_mul_f32_e32 v131, v60, v208
	v_fma_f32 v130, v60, v207, -v59
	s_waitcnt vmcnt(0)
	v_mul_f32_e32 v59, v13, v198
	v_fmac_f32_e32 v131, v61, v207
	v_sub_f32_e32 v77, v22, v130
	v_fma_f32 v59, v12, v197, -v59
	v_mul_f32_e32 v12, v12, v198
	v_fma_f32 v22, v22, 2.0, -v77
	v_sub_f32_e32 v219, v82, v59
	v_fmac_f32_e32 v12, v13, v197
	v_add_co_u32 v13, s1, 0xffffffe4, v225
	v_add_co_ci_u32_e64 v61, null, 0, -1, s1
	v_sub_f32_e32 v220, v83, v12
	v_cndmask_b32_e64 v60, v13, v225, s0
	v_lshrrev_b16 v13, 2, v87
	v_cndmask_b32_e64 v61, v61, 0, s0
	v_and_b32_e32 v13, 63, v13
	v_lshlrev_b64 v[61:62], 3, v[60:61]
	v_mul_lo_u16 v13, v13, 37
	v_add_co_u32 v61, s1, s4, v61
	v_add_co_ci_u32_e64 v62, s1, s5, v62, s1
	v_lshrrev_b16 v132, 8, v13
	v_cmp_lt_u16_e64 s1, 27, v225
	v_mul_lo_u16 v13, v132, 28
	v_sub_nc_u16 v13, v87, v13
	v_lshrrev_b16 v87, 8, v63
	v_and_b32_e32 v136, 0xff, v13
	v_mul_lo_u16 v63, v87, 28
	v_sub_nc_u16 v63, v86, v63
	v_and_b32_e32 v134, 0xff, v63
	v_lshlrev_b32_e32 v63, 3, v135
	v_lshlrev_b32_e32 v13, 3, v134
	s_clause 0x2
	global_load_dwordx2 v[213:214], v13, s[4:5] offset:192
	global_load_dwordx2 v[211:212], v63, s[4:5] offset:192
	global_load_dwordx2 v[215:216], v[61:62], off offset:192
	v_lshlrev_b32_e32 v13, 3, v136
	v_sub_f32_e32 v63, v40, v70
	v_sub_f32_e32 v70, v31, v80
	;; [unrolled: 1-line block ×4, first 2 shown]
	global_load_dwordx2 v[217:218], v13, s[4:5] offset:192
	s_waitcnt vmcnt(0)
	s_waitcnt_vscnt null, 0x0
	s_barrier
	buffer_gl0_inv
	v_sub_f32_e32 v62, v39, v118
	v_fma_f32 v38, v38, 2.0, -v61
	v_fma_f32 v40, v40, 2.0, -v63
	;; [unrolled: 1-line block ×5, first 2 shown]
	v_mul_f32_e32 v139, v52, v214
	v_mul_f32_e32 v141, v46, v212
	;; [unrolled: 1-line block ×3, first 2 shown]
	v_fmac_f32_e32 v139, v53, v213
	v_fmac_f32_e32 v141, v47, v211
	;; [unrolled: 1-line block ×3, first 2 shown]
	v_mul_f32_e32 v13, v51, v218
	v_mul_f32_e32 v137, v50, v218
	v_sub_f32_e32 v109, v19, v139
	v_sub_f32_e32 v111, v21, v141
	v_fma_f32 v13, v50, v217, -v13
	v_mul_f32_e32 v50, v53, v214
	v_fmac_f32_e32 v137, v51, v217
	v_sub_f32_e32 v51, v55, v119
	v_sub_f32_e32 v53, v57, v81
	v_mad_u16 v81, v123, 56, v124
	v_fma_f32 v138, v52, v213, -v50
	v_mul_f32_e32 v50, v49, v210
	v_sub_f32_e32 v52, v56, v74
	v_sub_f32_e32 v74, v27, v126
	v_fma_f32 v55, v55, 2.0, -v51
	v_sub_f32_e32 v108, v18, v138
	v_fma_f32 v50, v48, v209, -v50
	v_mul_f32_e32 v48, v48, v210
	v_fma_f32 v56, v56, 2.0, -v52
	v_fma_f32 v57, v57, 2.0, -v53
	;; [unrolled: 1-line block ×3, first 2 shown]
	v_fmac_f32_e32 v48, v49, v209
	v_mul_f32_e32 v49, v47, v212
	v_sub_f32_e32 v47, v43, v48
	v_fma_f32 v140, v46, v211, -v49
	v_sub_f32_e32 v46, v42, v50
	v_sub_f32_e32 v50, v54, v79
	v_mul_f32_e32 v79, v25, v216
	v_sub_f32_e32 v25, v15, v80
	v_sub_f32_e32 v80, v17, v137
	;; [unrolled: 1-line block ×4, first 2 shown]
	v_fma_f32 v79, v24, v215, -v79
	v_sub_f32_e32 v49, v45, v117
	v_sub_f32_e32 v78, v23, v131
	v_fma_f32 v42, v42, 2.0, -v46
	v_fma_f32 v43, v43, 2.0, -v47
	v_sub_f32_e32 v24, v14, v79
	v_sub_f32_e32 v79, v16, v13
	v_fma_f32 v44, v44, 2.0, -v48
	v_fma_f32 v45, v45, 2.0, -v49
	;; [unrolled: 1-line block ×11, first 2 shown]
	v_cndmask_b32_e64 v21, 0, 56, s1
	v_fma_f32 v23, v23, 2.0, -v78
	v_add_lshl_u32 v21, v60, v21, 3
	v_mad_u16 v60, v115, 56, v120
	ds_write2_b64 v21, v[13:14], v[24:25] offset1:28
	v_mov_b32_e32 v13, 56
	buffer_store_dword v21, off, s[20:23], 0 offset:312 ; 4-byte Folded Spill
	v_mad_u16 v21, v89, 56, v92
	v_mad_u16 v24, v88, 56, v90
	;; [unrolled: 1-line block ×3, first 2 shown]
	v_mul_u32_u24_sdwa v14, v132, v13 dst_sel:DWORD dst_unused:UNUSED_PAD src0_sel:WORD_0 src1_sel:DWORD
	v_lshlrev_b32_sdwa v89, v105, v21 dst_sel:DWORD dst_unused:UNUSED_PAD src0_sel:DWORD src1_sel:WORD_0
	v_lshlrev_b32_sdwa v21, v105, v24 dst_sel:DWORD dst_unused:UNUSED_PAD src0_sel:DWORD src1_sel:WORD_0
	v_add_lshl_u32 v14, v14, v136, 3
	buffer_store_dword v89, off, s[20:23], 0 offset:360 ; 4-byte Folded Spill
	buffer_store_dword v21, off, s[20:23], 0 offset:352 ; 4-byte Folded Spill
	;; [unrolled: 1-line block ×3, first 2 shown]
	ds_write2_b64 v14, v[15:16], v[79:80] offset1:28
	v_mul_u32_u24_sdwa v14, v87, v13 dst_sel:DWORD dst_unused:UNUSED_PAD src0_sel:WORD_0 src1_sel:DWORD
	v_mul_u32_u24_sdwa v13, v133, v13 dst_sel:DWORD dst_unused:UNUSED_PAD src0_sel:WORD_0 src1_sel:DWORD
	v_mad_u16 v15, v96, 56, v99
	v_mad_u16 v16, v94, 56, v98
	;; [unrolled: 1-line block ×3, first 2 shown]
	v_add_lshl_u32 v14, v14, v134, 3
	v_mad_u16 v80, v121, 56, v114
	v_lshlrev_b32_sdwa v90, v105, v16 dst_sel:DWORD dst_unused:UNUSED_PAD src0_sel:DWORD src1_sel:WORD_0
	v_lshlrev_b32_sdwa v16, v105, v79 dst_sel:DWORD dst_unused:UNUSED_PAD src0_sel:DWORD src1_sel:WORD_0
	buffer_store_dword v14, off, s[20:23], 0 offset:320 ; 4-byte Folded Spill
	ds_write2_b64 v14, v[17:18], v[108:109] offset1:28
	v_mad_u16 v14, v112, 56, v113
	v_mad_u16 v17, v93, 56, v97
	;; [unrolled: 1-line block ×3, first 2 shown]
	v_lshlrev_b32_sdwa v91, v105, v15 dst_sel:DWORD dst_unused:UNUSED_PAD src0_sel:DWORD src1_sel:WORD_0
	v_add_lshl_u32 v93, v13, v135, 3
	v_lshlrev_b32_sdwa v92, v105, v14 dst_sel:DWORD dst_unused:UNUSED_PAD src0_sel:DWORD src1_sel:WORD_0
	v_mad_u16 v14, v127, 56, v128
	v_lshlrev_b32_sdwa v88, v105, v17 dst_sel:DWORD dst_unused:UNUSED_PAD src0_sel:DWORD src1_sel:WORD_0
	v_lshlrev_b32_sdwa v87, v105, v18 dst_sel:DWORD dst_unused:UNUSED_PAD src0_sel:DWORD src1_sel:WORD_0
	;; [unrolled: 1-line block ×7, first 2 shown]
	buffer_store_dword v93, off, s[20:23], 0 offset:376 ; 4-byte Folded Spill
	ds_write2_b64 v93, v[19:20], v[110:111] offset1:28
	buffer_store_dword v92, off, s[20:23], 0 offset:372 ; 4-byte Folded Spill
	ds_write2_b64 v92, v[42:43], v[46:47] offset1:28
	;; [unrolled: 2-line block ×6, first 2 shown]
	ds_write2_b64 v89, v[40:41], v[63:64] offset1:28
	ds_write2_b64 v21, v[34:35], v[65:66] offset1:28
	buffer_store_dword v18, off, s[20:23], 0 offset:344 ; 4-byte Folded Spill
	ds_write2_b64 v18, v[36:37], v[67:68] offset1:28
	buffer_store_dword v17, off, s[20:23], 0 offset:340 ; 4-byte Folded Spill
	;; [unrolled: 2-line block ×6, first 2 shown]
	ds_write2_b64 v14, v[22:23], v[77:78] offset1:28
	s_and_saveexec_b32 s1, s0
	s_cbranch_execz .LBB0_11
; %bb.10:
	v_fma_f32 v13, v83, 2.0, -v220
	v_fma_f32 v12, v82, 2.0, -v219
	v_add_nc_u32_e32 v14, 0x3800, v58
	ds_write2_b64 v14, v[12:13], v[219:220] offset0:112 offset1:140
.LBB0_11:
	s_or_b32 exec_lo, exec_lo, s1
	v_lshrrev_b16 v24, 3, v86
	v_mad_u64_u32 v[12:13], null, v225, 48, s[4:5]
	s_waitcnt lgkmcnt(0)
	s_waitcnt_vscnt null, 0x0
	s_barrier
	v_and_b32_e32 v24, 31, v24
	buffer_gl0_inv
	v_lshrrev_b16 v36, 3, v85
	s_clause 0x2
	global_load_dwordx4 v[20:23], v[12:13], off offset:416
	global_load_dwordx4 v[16:19], v[12:13], off offset:432
	global_load_dwordx4 v[12:15], v[12:13], off offset:448
	v_mul_lo_u16 v24, v24, 37
	v_mov_b32_e32 v37, 0x2493
	v_lshrrev_b16 v38, 3, v84
	v_add_nc_u32_e32 v127, 0x400, v255
	v_add_nc_u32_e32 v132, 0x1000, v255
	v_lshrrev_b16 v24, 8, v24
	v_mul_u32_u24_sdwa v36, v36, v37 dst_sel:DWORD dst_unused:UNUSED_PAD src0_sel:WORD_0 src1_sel:DWORD
	v_and_b32_e32 v40, 31, v38
	v_add_nc_u32_e32 v131, 0x2000, v255
	v_add_nc_u32_e32 v130, 0x3000, v255
	v_mul_lo_u16 v24, v24, 56
	v_lshrrev_b32_e32 v41, 16, v36
	v_mul_lo_u16 v40, v40, 37
	v_add_nc_u32_e32 v126, 0x1800, v255
	v_add_nc_u32_e32 v128, 0x2800, v255
	v_sub_nc_u16 v24, v86, v24
	v_mul_lo_u16 v44, v41, 56
	v_lshrrev_b16 v45, 8, v40
	v_add_nc_u32_e32 v129, 0x800, v255
	v_add_nc_u32_e32 v170, 0x2400, v255
	v_and_b32_e32 v107, 0xff, v24
	v_sub_nc_u16 v106, v85, v44
	v_mul_lo_u16 v52, v45, 56
	v_add_nc_u32_e32 v135, 0x3800, v255
	v_add_nc_u32_e32 v134, 0x1c00, v255
	v_mad_u64_u32 v[28:29], null, v107, 48, s[4:5]
	v_mul_lo_u16 v56, v106, 48
	v_sub_nc_u16 v76, v84, v52
	v_lshlrev_b32_sdwa v105, v105, v106 dst_sel:DWORD dst_unused:UNUSED_PAD src0_sel:DWORD src1_sel:WORD_0
	v_lshlrev_b32_e32 v100, 3, v100
	v_mov_b32_e32 v248, v135
	v_and_b32_e32 v77, 0xffff, v56
	s_clause 0x2
	global_load_dwordx4 v[24:27], v[28:29], off offset:416
	global_load_dwordx4 v[32:35], v[28:29], off offset:432
	;; [unrolled: 1-line block ×3, first 2 shown]
	ds_read2_b64 v[36:39], v255 offset1:56
	ds_read2_b64 v[60:63], v127 offset0:96 offset1:152
	ds_read2_b64 v[40:43], v132 offset0:48 offset1:104
	ds_read_b64 v[98:99], v255 offset:15232
	ds_read2_b64 v[64:67], v126 offset0:16 offset1:72
	ds_read2_b64 v[44:47], v131 offset0:96 offset1:152
	;; [unrolled: 1-line block ×7, first 2 shown]
	v_and_b32_e32 v108, 0xff, v76
	v_add_co_u32 v76, s1, s4, v77
	v_add_co_ci_u32_e64 v77, null, s5, 0, s1
	s_waitcnt vmcnt(5) lgkmcnt(9)
	v_mul_f32_e32 v78, v63, v21
	v_mul_f32_e32 v79, v62, v21
	s_waitcnt lgkmcnt(8)
	v_mul_f32_e32 v80, v41, v23
	v_mul_f32_e32 v81, v40, v23
	;; [unrolled: 1-line block ×4, first 2 shown]
	s_waitcnt vmcnt(4) lgkmcnt(5)
	v_mul_f32_e32 v86, v44, v19
	s_waitcnt vmcnt(3) lgkmcnt(4)
	v_mul_f32_e32 v88, v49, v15
	v_mul_f32_e32 v89, v48, v15
	s_waitcnt lgkmcnt(3)
	v_mul_f32_e32 v91, v71, v13
	v_mul_f32_e32 v92, v70, v13
	;; [unrolled: 1-line block ×7, first 2 shown]
	s_waitcnt lgkmcnt(2)
	v_mul_f32_e32 v93, v53, v21
	v_mul_f32_e32 v116, v52, v21
	s_waitcnt lgkmcnt(0)
	v_mul_f32_e32 v95, v73, v13
	v_mul_f32_e32 v118, v72, v13
	v_fma_f32 v40, v40, v22, -v80
	v_fmac_f32_e32 v81, v41, v22
	v_fma_f32 v119, v42, v22, -v84
	v_fmac_f32_e32 v113, v43, v22
	v_fmac_f32_e32 v86, v45, v18
	v_fma_f32 v42, v48, v14, -v88
	v_fmac_f32_e32 v89, v49, v14
	v_fma_f32 v43, v62, v20, -v78
	;; [unrolled: 2-line block ×3, first 2 shown]
	v_fmac_f32_e32 v92, v71, v12
	v_mul_f32_e32 v87, v47, v19
	v_mul_f32_e32 v114, v46, v19
	v_mul_f32_e32 v94, v57, v17
	v_mul_f32_e32 v117, v56, v17
	v_fma_f32 v41, v44, v18, -v85
	v_fma_f32 v121, v50, v14, -v90
	v_fmac_f32_e32 v115, v51, v14
	v_fma_f32 v44, v66, v16, -v82
	v_fmac_f32_e32 v83, v67, v16
	;; [unrolled: 2-line block ×4, first 2 shown]
	v_add_f32_e32 v125, v43, v42
	v_add_f32_e32 v133, v40, v45
	;; [unrolled: 1-line block ×4, first 2 shown]
	v_fma_f32 v120, v46, v18, -v87
	v_fmac_f32_e32 v114, v47, v18
	v_fma_f32 v123, v56, v16, -v94
	v_fmac_f32_e32 v117, v57, v16
	v_add_f32_e32 v46, v44, v41
	v_add_f32_e32 v47, v83, v86
	v_add_f32_e32 v138, v122, v121
	v_add_f32_e32 v139, v119, v124
	v_add_f32_e32 v141, v116, v115
	v_add_f32_e32 v142, v113, v118
	v_sub_f32_e32 v144, v43, v42
	v_sub_f32_e32 v145, v79, v89
	;; [unrolled: 1-line block ×6, first 2 shown]
	v_add_f32_e32 v42, v133, v125
	v_add_f32_e32 v43, v137, v136
	;; [unrolled: 1-line block ×6, first 2 shown]
	v_sub_f32_e32 v48, v125, v46
	v_sub_f32_e32 v49, v136, v47
	v_add_f32_e32 v50, v40, v146
	v_sub_f32_e32 v51, v40, v146
	v_sub_f32_e32 v150, v144, v40
	v_add_f32_e32 v40, v41, v147
	;; [unrolled: 3-line block ×3, first 2 shown]
	v_add_f32_e32 v42, v47, v43
	v_sub_f32_e32 v148, v46, v133
	v_sub_f32_e32 v149, v47, v137
	v_add_f32_e32 v152, v140, v44
	v_add_f32_e32 v153, v143, v45
	v_mul_f32_e32 v156, 0x3f4a47b2, v48
	v_mul_f32_e32 v158, 0x3f4a47b2, v49
	v_add_f32_e32 v66, v36, v41
	v_add_f32_e32 v67, v37, v42
	s_waitcnt vmcnt(2)
	v_mul_f32_e32 v36, v55, v25
	v_add_f32_e32 v109, v38, v152
	v_add_f32_e32 v110, v39, v153
	v_mul_f32_e32 v63, v54, v25
	v_fmamk_f32 v37, v148, 0x3d64c772, v156
	v_fma_f32 v162, v54, v24, -v36
	v_fmamk_f32 v36, v149, 0x3d64c772, v158
	v_fmamk_f32 v163, v41, 0xbf955555, v66
	;; [unrolled: 1-line block ×3, first 2 shown]
	s_waitcnt vmcnt(1)
	v_mul_f32_e32 v38, v59, v33
	v_mul_f32_e32 v62, v58, v33
	s_waitcnt vmcnt(0)
	v_mul_f32_e32 v39, v75, v29
	v_mad_u64_u32 v[48:49], null, v108, 48, s[4:5]
	v_add_f32_e32 v154, v50, v144
	v_add_f32_e32 v155, v40, v145
	v_mul_f32_e32 v157, 0xbf08b237, v51
	v_mul_f32_e32 v159, 0xbf08b237, v52
	v_fmac_f32_e32 v63, v55, v24
	v_fma_f32 v165, v58, v32, -v38
	v_fmac_f32_e32 v62, v59, v32
	v_add_f32_e32 v167, v37, v163
	v_add_f32_e32 v168, v36, v164
	v_fma_f32 v169, v74, v28, -v39
	s_clause 0x5
	global_load_dwordx4 v[40:43], v[76:77], off offset:432
	global_load_dwordx4 v[36:39], v[76:77], off offset:448
	;; [unrolled: 1-line block ×6, first 2 shown]
	v_fmamk_f32 v160, v150, 0x3eae86e6, v157
	v_fmamk_f32 v161, v151, 0x3eae86e6, v159
	v_mul_f32_e32 v166, v74, v29
	v_sub_f32_e32 v114, v114, v117
	v_sub_f32_e32 v117, v140, v139
	v_fmac_f32_e32 v160, 0x3ee1c552, v154
	v_fmac_f32_e32 v161, 0x3ee1c552, v155
	v_fmac_f32_e32 v166, v75, v28
	ds_read2_b64 v[82:85], v255 offset0:112 offset1:168
	ds_read2_b64 v[94:97], v132 offset0:160 offset1:216
	;; [unrolled: 1-line block ×3, first 2 shown]
	ds_read2_b64 v[86:89], v135 offset1:56
	ds_read2_b64 v[70:73], v129 offset0:192 offset1:248
	ds_read2_b64 v[78:81], v134 offset0:112 offset1:168
	;; [unrolled: 1-line block ×3, first 2 shown]
	s_waitcnt vmcnt(0) lgkmcnt(0)
	v_sub_f32_e32 v112, v168, v160
	v_add_f32_e32 v111, v161, v167
	s_barrier
	buffer_gl0_inv
	ds_write2_b64 v255, v[66:67], v[111:112] offset1:56
	v_sub_f32_e32 v111, v146, v144
	v_sub_f32_e32 v66, v133, v125
	;; [unrolled: 1-line block ×4, first 2 shown]
	v_mul_f32_e32 v125, 0x3d64c772, v148
	v_fma_f32 v133, 0x3f5ff5aa, v111, -v157
	v_mul_f32_e32 v111, 0x3f5ff5aa, v111
	v_fma_f32 v137, 0x3f5ff5aa, v112, -v159
	v_fma_f32 v125, 0x3f3bfb3b, v66, -v125
	;; [unrolled: 1-line block ×4, first 2 shown]
	v_mul_f32_e32 v111, 0x3f5ff5aa, v112
	v_fmac_f32_e32 v133, 0x3ee1c552, v154
	v_fmac_f32_e32 v137, 0x3ee1c552, v155
	v_add_f32_e32 v125, v125, v163
	v_fmac_f32_e32 v136, 0x3ee1c552, v154
	v_fma_f32 v144, 0xbeae86e6, v151, -v111
	v_mul_f32_e32 v111, 0x3d64c772, v149
	v_add_f32_e32 v145, v66, v163
	v_fmac_f32_e32 v144, 0x3ee1c552, v155
	v_fma_f32 v111, 0x3f3bfb3b, v67, -v111
	v_fma_f32 v67, 0xbf3bfb3b, v67, -v158
	v_add_f32_e32 v66, v144, v145
	v_add_f32_e32 v147, v111, v164
	;; [unrolled: 1-line block ×3, first 2 shown]
	v_sub_f32_e32 v111, v125, v137
	v_add_f32_e32 v112, v133, v147
	v_sub_f32_e32 v67, v146, v136
	ds_write2_b64 v255, v[66:67], v[111:112] offset0:112 offset1:168
	v_add_f32_e32 v66, v137, v125
	v_sub_f32_e32 v67, v147, v133
	v_sub_f32_e32 v111, v145, v144
	v_add_f32_e32 v112, v136, v146
	ds_write2_b64 v127, v[66:67], v[111:112] offset0:96 offset1:152
	v_sub_f32_e32 v66, v167, v161
	v_add_f32_e32 v67, v160, v168
	v_fmamk_f32 v111, v152, 0xbf955555, v109
	v_fmamk_f32 v112, v153, 0xbf955555, v110
	ds_write2_b64 v129, v[66:67], v[109:110] offset0:80 offset1:136
	v_sub_f32_e32 v109, v119, v124
	v_sub_f32_e32 v110, v113, v118
	;; [unrolled: 1-line block ×7, first 2 shown]
	v_add_f32_e32 v121, v113, v109
	v_sub_f32_e32 v122, v113, v109
	v_sub_f32_e32 v113, v66, v113
	v_sub_f32_e32 v123, v109, v66
	v_sub_f32_e32 v109, v114, v110
	v_add_f32_e32 v121, v121, v66
	v_add_f32_e32 v66, v114, v110
	v_sub_f32_e32 v114, v67, v114
	v_sub_f32_e32 v124, v110, v67
	;; [unrolled: 1-line block ×4, first 2 shown]
	v_add_f32_e32 v125, v66, v67
	v_mul_f32_e32 v67, 0x3f4a47b2, v119
	v_mul_f32_e32 v119, 0xbf08b237, v109
	;; [unrolled: 1-line block ×3, first 2 shown]
	v_sub_f32_e32 v120, v143, v142
	v_mul_f32_e32 v66, 0x3f4a47b2, v116
	v_mul_f32_e32 v116, 0xbf08b237, v122
	v_fma_f32 v122, 0xbeae86e6, v113, -v109
	v_mul_f32_e32 v109, 0x3f5ff5aa, v124
	v_fmamk_f32 v110, v120, 0x3d64c772, v67
	v_fmamk_f32 v113, v113, 0x3eae86e6, v116
	v_fma_f32 v67, 0xbf3bfb3b, v118, -v67
	v_fmac_f32_e32 v122, 0x3ee1c552, v121
	v_fma_f32 v133, 0xbeae86e6, v114, -v109
	v_fmamk_f32 v114, v114, 0x3eae86e6, v119
	v_fmamk_f32 v109, v117, 0x3d64c772, v66
	v_fma_f32 v66, 0xbf3bfb3b, v115, -v66
	v_fmac_f32_e32 v113, 0x3ee1c552, v121
	v_fmac_f32_e32 v133, 0x3ee1c552, v125
	;; [unrolled: 1-line block ×3, first 2 shown]
	v_add_f32_e32 v136, v109, v111
	v_add_f32_e32 v137, v110, v112
	v_add_f32_e32 v138, v66, v111
	v_add_f32_e32 v139, v67, v112
	v_add_f32_e32 v66, v114, v136
	v_sub_f32_e32 v67, v137, v113
	v_add_f32_e32 v109, v133, v138
	v_sub_f32_e32 v110, v139, v122
	ds_write2_b64 v129, v[66:67], v[109:110] offset0:192 offset1:248
	v_mul_f32_e32 v66, 0x3d64c772, v117
	v_mul_f32_e32 v67, 0x3d64c772, v120
	v_fma_f32 v110, 0x3f5ff5aa, v123, -v116
	v_fma_f32 v109, 0x3f5ff5aa, v124, -v119
	;; [unrolled: 1-line block ×4, first 2 shown]
	v_fmac_f32_e32 v110, 0x3ee1c552, v121
	v_fmac_f32_e32 v109, 0x3ee1c552, v125
	v_lshlrev_b32_e32 v125, 3, v107
	v_add_f32_e32 v111, v66, v111
	v_add_f32_e32 v112, v67, v112
	v_add_nc_u32_e32 v107, 0x1800, v125
	v_sub_f32_e32 v66, v111, v109
	v_add_f32_e32 v67, v110, v112
	v_add_f32_e32 v109, v109, v111
	v_sub_f32_e32 v110, v112, v110
	v_mul_f32_e32 v111, v87, v31
	ds_write2_b64 v132, v[66:67], v[109:110] offset0:48 offset1:104
	v_sub_f32_e32 v66, v138, v133
	v_add_f32_e32 v67, v122, v139
	v_sub_f32_e32 v109, v136, v114
	v_add_f32_e32 v110, v113, v137
	ds_write2_b64 v132, v[66:67], v[109:110] offset0:160 offset1:216
	v_mul_f32_e32 v66, v86, v31
	v_mul_f32_e32 v67, v95, v27
	;; [unrolled: 1-line block ×3, first 2 shown]
	v_fma_f32 v86, v86, v30, -v111
	v_fmac_f32_e32 v66, v87, v30
	v_fma_f32 v67, v94, v26, -v67
	v_fmac_f32_e32 v109, v95, v26
	v_add_f32_e32 v87, v162, v86
	v_sub_f32_e32 v86, v162, v86
	v_add_f32_e32 v94, v63, v66
	v_sub_f32_e32 v95, v63, v66
	;; [unrolled: 2-line block ×3, first 2 shown]
	v_mul_f32_e32 v63, v91, v35
	v_mul_f32_e32 v67, v90, v35
	v_add_f32_e32 v112, v109, v166
	v_sub_f32_e32 v109, v109, v166
	v_fma_f32 v63, v90, v34, -v63
	v_fmac_f32_e32 v67, v91, v34
	v_add_f32_e32 v66, v165, v63
	v_add_f32_e32 v90, v62, v67
	v_sub_f32_e32 v62, v67, v62
	v_add_f32_e32 v67, v110, v87
	v_sub_f32_e32 v63, v63, v165
	v_sub_f32_e32 v91, v87, v66
	;; [unrolled: 1-line block ×4, first 2 shown]
	v_add_f32_e32 v67, v66, v67
	v_add_f32_e32 v66, v112, v94
	;; [unrolled: 1-line block ×3, first 2 shown]
	v_sub_f32_e32 v116, v63, v111
	v_sub_f32_e32 v117, v86, v63
	v_add_f32_e32 v63, v62, v109
	v_add_f32_e32 v66, v90, v66
	v_sub_f32_e32 v118, v62, v109
	v_sub_f32_e32 v119, v95, v62
	v_mul_f32_e32 v91, 0x3f4a47b2, v91
	v_add_f32_e32 v120, v63, v95
	v_add_f32_e32 v62, v82, v67
	;; [unrolled: 1-line block ×3, first 2 shown]
	v_sub_f32_e32 v90, v90, v112
	v_mul_f32_e32 v82, 0xbf08b237, v116
	v_mul_f32_e32 v83, 0x3f4a47b2, v114
	;; [unrolled: 1-line block ×3, first 2 shown]
	v_fmamk_f32 v116, v67, 0xbf955555, v62
	v_fmamk_f32 v118, v66, 0xbf955555, v63
	;; [unrolled: 1-line block ×3, first 2 shown]
	v_add_f32_e32 v115, v115, v86
	v_fmamk_f32 v121, v117, 0x3eae86e6, v82
	v_fmamk_f32 v122, v119, 0x3eae86e6, v114
	v_add_f32_e32 v123, v66, v116
	v_fmamk_f32 v66, v90, 0x3d64c772, v83
	v_fmac_f32_e32 v121, 0x3ee1c552, v115
	v_fmac_f32_e32 v122, 0x3ee1c552, v120
	v_add_f32_e32 v124, v66, v118
	v_add_f32_e32 v66, v122, v123
	v_sub_f32_e32 v67, v124, v121
	ds_write2_b64 v107, v[62:63], v[66:67] offset0:16 offset1:72
	v_sub_f32_e32 v66, v111, v86
	v_sub_f32_e32 v67, v109, v95
	;; [unrolled: 1-line block ×4, first 2 shown]
	v_mul_f32_e32 v86, 0x3d64c772, v113
	v_fma_f32 v82, 0x3f5ff5aa, v66, -v82
	v_mul_f32_e32 v66, 0x3f5ff5aa, v66
	v_fma_f32 v86, 0x3f3bfb3b, v62, -v86
	v_fma_f32 v62, 0xbf3bfb3b, v62, -v91
	;; [unrolled: 1-line block ×3, first 2 shown]
	v_mul_f32_e32 v66, 0x3f5ff5aa, v67
	v_fma_f32 v91, 0x3f5ff5aa, v67, -v114
	v_fmac_f32_e32 v82, 0x3ee1c552, v115
	v_fmac_f32_e32 v87, 0x3ee1c552, v115
	v_fma_f32 v94, 0xbeae86e6, v119, -v66
	v_mul_f32_e32 v66, 0x3d64c772, v90
	v_fmac_f32_e32 v91, 0x3ee1c552, v120
	v_fmac_f32_e32 v94, 0x3ee1c552, v120
	v_fma_f32 v66, 0x3f3bfb3b, v63, -v66
	v_fma_f32 v63, 0xbf3bfb3b, v63, -v83
	v_add_f32_e32 v83, v86, v116
	v_add_f32_e32 v86, v62, v116
	v_lshlrev_b32_e32 v116, 3, v108
	v_add_f32_e32 v95, v66, v118
	v_add_f32_e32 v90, v63, v118
	v_sub_f32_e32 v66, v83, v91
	v_add_f32_e32 v62, v94, v86
	v_add_nc_u32_e32 v110, 0x2800, v116
	v_add_f32_e32 v67, v82, v95
	v_sub_f32_e32 v63, v90, v87
	ds_write2_b64 v107, v[62:63], v[66:67] offset0:128 offset1:184
	v_sub_f32_e32 v63, v95, v82
	v_sub_f32_e32 v66, v86, v94
	v_add_f32_e32 v67, v87, v90
	v_mul_f32_e32 v62, v97, v59
	v_mul_f32_e32 v82, v93, v55
	;; [unrolled: 1-line block ×3, first 2 shown]
	v_fma_f32 v107, v96, v58, -v62
	v_mul_f32_e32 v96, v96, v59
	v_add_f32_e32 v62, v91, v83
	v_mul_f32_e32 v83, v92, v55
	v_fma_f32 v82, v92, v54, -v82
	v_fmac_f32_e32 v96, v97, v58
	v_add_nc_u32_e32 v97, 0x1c00, v125
	v_fmac_f32_e32 v83, v93, v54
	ds_write2_b64 v97, v[62:63], v[66:67] offset0:112 offset1:168
	v_mul_f32_e32 v62, v71, v57
	v_mul_f32_e32 v63, v75, v49
	;; [unrolled: 1-line block ×3, first 2 shown]
	v_fma_f32 v67, v88, v50, -v86
	v_mul_f32_e32 v86, v79, v53
	v_fma_f32 v87, v70, v56, -v62
	v_mul_f32_e32 v70, v70, v57
	;; [unrolled: 2-line block ×3, first 2 shown]
	v_fmac_f32_e32 v66, v89, v50
	v_fma_f32 v86, v78, v52, -v86
	v_mul_f32_e32 v78, v78, v53
	v_add_f32_e32 v89, v87, v67
	v_add_f32_e32 v90, v107, v88
	v_fmac_f32_e32 v70, v71, v56
	v_fmac_f32_e32 v74, v75, v48
	;; [unrolled: 1-line block ×3, first 2 shown]
	v_add_f32_e32 v71, v86, v82
	v_add_f32_e32 v62, v90, v89
	;; [unrolled: 1-line block ×5, first 2 shown]
	v_sub_f32_e32 v66, v70, v66
	v_add_f32_e32 v91, v71, v62
	v_sub_f32_e32 v70, v107, v88
	v_add_f32_e32 v62, v79, v75
	v_sub_f32_e32 v74, v96, v74
	v_sub_f32_e32 v82, v82, v86
	;; [unrolled: 1-line block ×4, first 2 shown]
	v_add_f32_e32 v93, v92, v62
	v_add_f32_e32 v62, v84, v91
	v_sub_f32_e32 v84, v75, v92
	v_sub_f32_e32 v67, v87, v67
	;; [unrolled: 1-line block ×3, first 2 shown]
	v_add_f32_e32 v63, v85, v93
	v_sub_f32_e32 v85, v92, v79
	v_add_f32_e32 v86, v82, v70
	v_sub_f32_e32 v87, v82, v70
	;; [unrolled: 2-line block ×3, first 2 shown]
	v_mul_f32_e32 v83, 0x3f4a47b2, v83
	v_mul_f32_e32 v84, 0x3f4a47b2, v84
	v_sub_f32_e32 v74, v74, v66
	v_sub_f32_e32 v82, v67, v82
	;; [unrolled: 1-line block ×3, first 2 shown]
	v_add_f32_e32 v86, v86, v67
	v_mul_f32_e32 v87, 0xbf08b237, v87
	v_mul_f32_e32 v92, 0xbf08b237, v92
	v_fmamk_f32 v94, v71, 0x3d64c772, v83
	v_sub_f32_e32 v89, v90, v89
	v_fmamk_f32 v90, v85, 0x3d64c772, v84
	v_sub_f32_e32 v75, v79, v75
	v_sub_f32_e32 v67, v70, v67
	v_mul_f32_e32 v70, 0x3d64c772, v71
	v_mul_f32_e32 v71, 0x3d64c772, v85
	;; [unrolled: 1-line block ×3, first 2 shown]
	v_add_f32_e32 v88, v88, v66
	v_fmamk_f32 v95, v78, 0x3eae86e6, v92
	v_fmamk_f32 v96, v82, 0x3eae86e6, v87
	v_fma_f32 v71, 0x3f3bfb3b, v75, -v71
	v_fma_f32 v75, 0xbf3bfb3b, v75, -v84
	;; [unrolled: 1-line block ×5, first 2 shown]
	v_mul_f32_e32 v85, v81, v41
	v_mul_f32_e32 v87, v80, v41
	v_fmamk_f32 v91, v91, 0xbf955555, v62
	v_fmac_f32_e32 v95, 0x3ee1c552, v88
	v_fma_f32 v70, 0x3f3bfb3b, v89, -v70
	v_fma_f32 v79, 0xbf3bfb3b, v89, -v83
	v_fmac_f32_e32 v78, 0x3ee1c552, v88
	v_fmac_f32_e32 v74, 0x3ee1c552, v88
	v_fma_f32 v80, v80, v40, -v85
	v_mul_f32_e32 v85, v69, v43
	v_fmac_f32_e32 v87, v81, v40
	v_mul_f32_e32 v81, v77, v37
	v_mul_f32_e32 v88, v76, v37
	v_mul_f32_e32 v89, v73, v45
	v_add_f32_e32 v94, v94, v91
	v_add_f32_e32 v70, v70, v91
	;; [unrolled: 1-line block ×3, first 2 shown]
	v_fma_f32 v85, v68, v42, -v85
	v_mul_f32_e32 v91, v68, v43
	v_fma_f32 v76, v76, v36, -v81
	v_fmac_f32_e32 v88, v77, v36
	v_fma_f32 v77, v72, v44, -v89
	v_mul_f32_e32 v72, v72, v45
	v_mul_f32_e32 v68, v99, v39
	;; [unrolled: 1-line block ×5, first 2 shown]
	v_fmamk_f32 v93, v93, 0xbf955555, v63
	v_mul_f32_e32 v83, 0x3f5ff5aa, v67
	v_fmac_f32_e32 v72, v73, v44
	v_fma_f32 v73, v98, v38, -v68
	v_fma_f32 v81, v64, v46, -v81
	v_fmac_f32_e32 v89, v99, v38
	v_fmac_f32_e32 v92, v65, v46
	v_add_f32_e32 v90, v90, v93
	v_fma_f32 v82, 0xbeae86e6, v82, -v83
	v_add_f32_e32 v71, v71, v93
	v_add_f32_e32 v75, v75, v93
	v_fmac_f32_e32 v91, v69, v42
	v_add_f32_e32 v93, v77, v73
	v_add_f32_e32 v97, v81, v76
	;; [unrolled: 1-line block ×4, first 2 shown]
	v_fmac_f32_e32 v96, 0x3ee1c552, v86
	v_fmac_f32_e32 v82, 0x3ee1c552, v86
	;; [unrolled: 1-line block ×3, first 2 shown]
	v_add_f32_e32 v86, v80, v85
	v_add_f32_e32 v69, v97, v93
	;; [unrolled: 1-line block ×4, first 2 shown]
	v_sub_f32_e32 v68, v70, v74
	v_add_f32_e32 v70, v74, v70
	v_add_f32_e32 v109, v86, v69
	v_sub_f32_e32 v77, v77, v73
	v_add_f32_e32 v108, v107, v108
	v_sub_f32_e32 v89, v72, v89
	v_sub_f32_e32 v76, v81, v76
	;; [unrolled: 1-line block ×7, first 2 shown]
	v_add_f32_e32 v60, v60, v109
	v_add_f32_e32 v61, v61, v108
	v_sub_f32_e32 v80, v86, v97
	v_sub_f32_e32 v86, v107, v99
	v_add_f32_e32 v87, v72, v76
	v_sub_f32_e32 v88, v72, v76
	v_sub_f32_e32 v92, v77, v72
	;; [unrolled: 1-line block ×3, first 2 shown]
	v_mul_f32_e32 v111, 0x3f4a47b2, v74
	v_mul_f32_e32 v85, 0x3f4a47b2, v85
	v_add_f32_e32 v91, v73, v81
	v_sub_f32_e32 v107, v89, v73
	v_mul_f32_e32 v112, 0xbf08b237, v72
	v_fmamk_f32 v109, v109, 0xbf955555, v60
	v_fmamk_f32 v108, v108, 0xbf955555, v61
	;; [unrolled: 1-line block ×4, first 2 shown]
	v_sub_f32_e32 v76, v76, v77
	v_sub_f32_e32 v81, v81, v89
	v_mul_f32_e32 v88, 0xbf08b237, v88
	v_add_f32_e32 v64, v78, v79
	v_sub_f32_e32 v65, v75, v82
	v_add_f32_e32 v69, v84, v71
	v_add_f32_e32 v87, v87, v77
	v_sub_f32_e32 v71, v71, v84
	v_add_f32_e32 v84, v72, v109
	;; [unrolled: 3-line block ×3, first 2 shown]
	v_sub_f32_e32 v78, v97, v93
	v_mul_f32_e32 v79, 0x3d64c772, v80
	v_sub_f32_e32 v80, v99, v98
	v_mul_f32_e32 v77, 0x3d64c772, v86
	v_mul_f32_e32 v82, 0x3f5ff5aa, v76
	;; [unrolled: 1-line block ×3, first 2 shown]
	v_add_f32_e32 v91, v91, v89
	v_fmamk_f32 v113, v107, 0x3eae86e6, v112
	v_fmamk_f32 v114, v92, 0x3eae86e6, v88
	v_fma_f32 v79, 0x3f3bfb3b, v78, -v79
	v_fma_f32 v78, 0xbf3bfb3b, v78, -v111
	;; [unrolled: 1-line block ×8, first 2 shown]
	v_fmac_f32_e32 v113, 0x3ee1c552, v91
	v_fmac_f32_e32 v114, 0x3ee1c552, v87
	v_add_f32_e32 v88, v79, v109
	v_add_f32_e32 v89, v78, v109
	v_add_f32_e32 v92, v77, v108
	v_add_f32_e32 v80, v80, v108
	v_fmac_f32_e32 v86, 0x3ee1c552, v91
	v_fmac_f32_e32 v82, 0x3ee1c552, v87
	;; [unrolled: 1-line block ×4, first 2 shown]
	v_add_f32_e32 v66, v95, v94
	v_sub_f32_e32 v67, v90, v96
	v_add_nc_u32_e32 v83, 0x2000, v116
	v_add_f32_e32 v74, v113, v84
	v_sub_f32_e32 v75, v115, v114
	v_add_nc_u32_e32 v87, 0x3000, v105
	v_add_f32_e32 v76, v86, v89
	v_sub_f32_e32 v77, v80, v82
	v_sub_f32_e32 v78, v88, v81
	v_add_f32_e32 v79, v85, v92
	ds_write2_b64 v83, v[62:63], v[66:67] offset0:152 offset1:208
	ds_write2_b64 v110, v[64:65], v[68:69] offset0:8 offset1:64
	;; [unrolled: 1-line block ×5, first 2 shown]
	v_add_f32_e32 v60, v81, v88
	v_sub_f32_e32 v61, v92, v85
	v_sub_f32_e32 v62, v89, v86
	v_add_f32_e32 v63, v82, v80
	v_add_nc_u32_e32 v70, 0x3800, v105
	v_sub_f32_e32 v68, v84, v113
	v_add_f32_e32 v69, v114, v115
	v_sub_f32_e32 v66, v94, v95
	v_add_f32_e32 v67, v96, v90
	ds_write2_b64 v70, v[60:61], v[62:63] offset1:56
	v_lshlrev_b32_e32 v60, 3, v104
	v_lshlrev_b32_e32 v61, 3, v103
	ds_write_b64 v105, v[68:69] offset:15232
	v_sub_f32_e32 v64, v123, v122
	v_add_f32_e32 v65, v121, v124
	v_add_co_u32 v68, s1, s4, v60
	v_add_co_ci_u32_e64 v69, null, s5, 0, s1
	ds_write_b64 v116, v[66:67] offset:12096
	v_add_co_u32 v66, s1, s4, v61
	v_add_co_ci_u32_e64 v67, null, s5, 0, s1
	v_add_co_u32 v60, s1, 0x800, v68
	v_add_co_ci_u32_e64 v61, s1, 0, v69, s1
	ds_write_b64 v125, v[64:65] offset:8960
	v_add_co_u32 v64, s1, 0x800, v66
	v_add_co_ci_u32_e64 v65, s1, 0, v67, s1
	v_add_co_u32 v66, s1, 0xc20, v66
	v_lshlrev_b32_e32 v70, 3, v102
	v_add_co_ci_u32_e64 v67, s1, 0, v67, s1
	v_add_co_u32 v68, s1, 0xc20, v68
	v_add_co_ci_u32_e64 v69, s1, 0, v69, s1
	v_add_co_u32 v70, s1, s4, v70
	v_add_co_ci_u32_e64 v71, null, s5, 0, s1
	buffer_store_dword v125, off, s[20:23], 0 offset:380 ; 4-byte Folded Spill
	buffer_store_dword v116, off, s[20:23], 0 offset:384 ; 4-byte Folded Spill
	;; [unrolled: 1-line block ×3, first 2 shown]
	s_waitcnt lgkmcnt(0)
	s_waitcnt_vscnt null, 0x0
	s_barrier
	buffer_gl0_inv
	s_clause 0x2
	global_load_dwordx4 v[60:63], v[60:61], off offset:1056
	global_load_dwordx4 v[88:91], v[64:65], off offset:1056
	;; [unrolled: 1-line block ×3, first 2 shown]
	v_add_co_u32 v64, s1, 0x800, v70
	v_add_co_ci_u32_e64 v65, s1, 0, v71, s1
	v_lshlrev_b32_e32 v76, 3, v101
	s_clause 0x1
	global_load_dwordx4 v[72:75], v[68:69], off offset:16
	global_load_dwordx4 v[64:67], v[64:65], off offset:1056
	v_add_co_u32 v68, s1, 0xc20, v70
	v_add_co_ci_u32_e64 v69, s1, 0, v71, s1
	v_add_co_u32 v84, s1, s4, v76
	v_add_co_ci_u32_e64 v85, null, s5, 0, s1
	global_load_dwordx4 v[76:79], v[68:69], off offset:16
	v_add_co_u32 v68, s1, 0x800, v84
	v_add_co_ci_u32_e64 v69, s1, 0, v85, s1
	v_add_co_u32 v84, s1, 0xc20, v84
	v_add_co_ci_u32_e64 v85, s1, 0, v85, s1
	s_clause 0x1
	global_load_dwordx4 v[68:71], v[68:69], off offset:1056
	global_load_dwordx4 v[84:87], v[84:85], off offset:16
	ds_read2_b64 v[92:95], v126 offset0:16 offset1:72
	ds_read2_b64 v[96:99], v130 offset0:32 offset1:88
	;; [unrolled: 1-line block ×5, first 2 shown]
	buffer_store_dword v226, off, s[20:23], 0 offset:276 ; 4-byte Folded Spill
	s_waitcnt vmcnt(7) lgkmcnt(4)
	v_mul_f32_e32 v114, v95, v63
	s_waitcnt vmcnt(6)
	v_mul_f32_e32 v113, v93, v91
	v_mul_f32_e32 v221, v92, v91
	;; [unrolled: 1-line block ×3, first 2 shown]
	s_waitcnt lgkmcnt(2)
	v_mul_f32_e32 v177, v101, v61
	v_fma_f32 v176, v94, v62, -v114
	v_fma_f32 v223, v92, v90, -v113
	s_waitcnt vmcnt(4)
	v_mul_f32_e32 v92, v99, v75
	v_fmac_f32_e32 v221, v93, v90
	v_mul_f32_e32 v93, v102, v61
	s_waitcnt lgkmcnt(1)
	v_mul_f32_e32 v94, v106, v73
	v_fmac_f32_e32 v174, v95, v62
	v_fma_f32 v178, v98, v74, -v92
	s_waitcnt vmcnt(3)
	v_mul_f32_e32 v92, v104, v65
	v_fma_f32 v180, v101, v60, -v93
	s_waitcnt lgkmcnt(0)
	v_mul_f32_e32 v93, v110, v67
	v_fma_f32 v181, v105, v72, -v94
	v_mul_f32_e32 v166, v103, v65
	v_fma_f32 v168, v103, v64, -v92
	s_waitcnt vmcnt(2)
	v_mul_f32_e32 v92, v108, v77
	v_fma_f32 v172, v109, v66, -v93
	v_mul_f32_e32 v115, v97, v83
	v_fmac_f32_e32 v177, v102, v60
	v_fmac_f32_e32 v166, v104, v64
	v_fma_f32 v170, v107, v76, -v92
	ds_read2_b64 v[101:104], v132 offset0:48 offset1:104
	v_mul_f32_e32 v222, v96, v83
	s_waitcnt vmcnt(1)
	v_mul_f32_e32 v92, v112, v71
	v_fma_f32 v224, v96, v82, -v115
	v_mul_f32_e32 v175, v98, v75
	v_mul_f32_e32 v179, v105, v73
	v_fmac_f32_e32 v222, v97, v82
	v_fma_f32 v151, v111, v70, -v92
	ds_read2_b64 v[92:95], v130 offset0:144 offset1:200
	v_fmac_f32_e32 v175, v99, v74
	v_mul_f32_e32 v167, v107, v77
	v_mul_f32_e32 v169, v109, v67
	v_fmac_f32_e32 v179, v106, v72
	v_mul_f32_e32 v149, v111, v71
	v_fmac_f32_e32 v167, v108, v76
	v_fmac_f32_e32 v169, v110, v66
	;; [unrolled: 1-line block ×3, first 2 shown]
	s_waitcnt lgkmcnt(1)
	v_mul_f32_e32 v161, v101, v69
	v_fmac_f32_e32 v161, v102, v68
	s_waitcnt lgkmcnt(0)
	v_mul_f32_e32 v96, v93, v79
	v_mul_f32_e32 v171, v92, v79
	s_waitcnt vmcnt(0)
	v_mul_f32_e32 v153, v94, v87
	v_fma_f32 v173, v92, v78, -v96
	v_mul_f32_e32 v92, v95, v87
	v_fmac_f32_e32 v153, v95, v86
	v_fmac_f32_e32 v171, v93, v78
	v_mul_f32_e32 v96, v102, v69
	v_fma_f32 v155, v94, v86, -v92
	v_add_co_u32 v94, s1, s4, v226
	v_add_co_ci_u32_e64 v95, null, s5, 0, s1
	v_fma_f32 v163, v101, v68, -v96
	v_add_co_u32 v92, s1, 0x800, v94
	v_add_co_ci_u32_e64 v93, s1, 0, v95, s1
	v_add_co_u32 v94, s1, 0xc20, v94
	v_add_co_ci_u32_e64 v95, s1, 0, v95, s1
	s_clause 0x1
	global_load_dwordx4 v[96:99], v[92:93], off offset:1056
	global_load_dwordx4 v[92:95], v[94:95], off offset:16
	ds_read2_b64 v[106:109], v134 offset0:112 offset1:168
	s_waitcnt vmcnt(1)
	v_mul_f32_e32 v101, v104, v97
	v_mul_f32_e32 v144, v103, v97
	s_waitcnt lgkmcnt(0)
	v_mul_f32_e32 v156, v106, v99
	v_fma_f32 v145, v103, v96, -v101
	v_fmac_f32_e32 v144, v104, v96
	ds_read2_b64 v[101:104], v128 offset0:64 offset1:120
	v_fmac_f32_e32 v156, v107, v98
	s_waitcnt lgkmcnt(0)
	v_mul_f32_e32 v105, v102, v85
	v_mul_f32_e32 v164, v101, v85
	s_waitcnt vmcnt(0)
	v_mul_f32_e32 v146, v103, v93
	v_fma_f32 v165, v101, v84, -v105
	v_mul_f32_e32 v101, v104, v93
	v_fmac_f32_e32 v164, v102, v84
	v_add_co_u32 v102, s1, s4, v100
	v_fmac_f32_e32 v146, v104, v92
	v_fma_f32 v147, v103, v92, -v101
	v_add_co_ci_u32_e64 v103, null, s5, 0, s1
	v_add_co_u32 v100, s1, 0x800, v102
	v_mul_f32_e32 v104, v107, v99
	v_add_co_ci_u32_e64 v101, s1, 0, v103, s1
	v_add_co_u32 v102, s1, 0xc20, v102
	v_add_co_ci_u32_e64 v103, s1, 0, v103, s1
	v_fma_f32 v157, v106, v98, -v104
	s_clause 0x1
	global_load_dwordx4 v[104:107], v[100:101], off offset:1056
	global_load_dwordx4 v[100:103], v[102:103], off offset:16
	ds_read2_b64 v[114:117], v132 offset0:160 offset1:216
	buffer_store_dword v227, off, s[20:23], 0 offset:284 ; 4-byte Folded Spill
	s_waitcnt vmcnt(1)
	v_mul_f32_e32 v110, v109, v107
	v_mul_f32_e32 v136, v108, v107
	s_waitcnt lgkmcnt(0)
	v_mul_f32_e32 v152, v114, v105
	v_fma_f32 v138, v108, v106, -v110
	v_fmac_f32_e32 v136, v109, v106
	ds_read2_b64 v[108:111], v135 offset1:56
	v_fmac_f32_e32 v152, v115, v104
	s_waitcnt lgkmcnt(0)
	v_mul_f32_e32 v112, v109, v95
	v_mul_f32_e32 v159, v108, v95
	s_waitcnt vmcnt(0)
	v_mul_f32_e32 v140, v110, v103
	v_fma_f32 v162, v108, v94, -v112
	v_mul_f32_e32 v108, v111, v103
	v_fmac_f32_e32 v140, v111, v102
	v_fmac_f32_e32 v159, v109, v94
	v_mul_f32_e32 v112, v115, v105
	v_fma_f32 v142, v110, v102, -v108
	v_add_co_u32 v110, s1, s4, v227
	v_add_co_ci_u32_e64 v111, null, s5, 0, s1
	v_fma_f32 v154, v114, v104, -v112
	v_add_co_u32 v108, s1, 0x800, v110
	v_add_co_ci_u32_e64 v109, s1, 0, v111, s1
	v_add_co_u32 v110, s1, 0xc20, v110
	v_add_co_ci_u32_e64 v111, s1, 0, v111, s1
	s_clause 0x1
	global_load_dwordx4 v[112:115], v[108:109], off offset:1056
	global_load_dwordx4 v[108:111], v[110:111], off offset:16
	s_add_u32 s4, s6, 0x3d40
	s_addc_u32 s5, s7, 0
	s_waitcnt vmcnt(1)
	v_mul_f32_e32 v118, v117, v113
	v_mul_f32_e32 v137, v116, v113
	v_fma_f32 v139, v116, v112, -v118
	v_fmac_f32_e32 v137, v117, v112
	ds_read2_b64 v[116:119], v131 offset0:96 offset1:152
	s_waitcnt lgkmcnt(0)
	v_mul_f32_e32 v120, v119, v81
	v_mul_f32_e32 v133, v118, v81
	;; [unrolled: 1-line block ×3, first 2 shown]
	v_fma_f32 v226, v118, v80, -v120
	v_mul_f32_e32 v118, v117, v115
	v_fmac_f32_e32 v133, v119, v80
	v_fmac_f32_e32 v141, v117, v114
	v_sub_f32_e32 v121, v224, v226
	v_fma_f32 v143, v116, v114, -v118
	ds_read2_b64 v[116:119], v128 offset0:176 offset1:232
	v_add_f32_e32 v124, v223, v226
	v_add_f32_e32 v125, v221, v133
	v_sub_f32_e32 v231, v221, v133
	v_sub_f32_e32 v234, v223, v226
	s_waitcnt lgkmcnt(0)
	v_mul_f32_e32 v120, v117, v101
	v_mul_f32_e32 v158, v116, v101
	s_waitcnt vmcnt(0)
	v_mul_f32_e32 v148, v118, v109
	v_fma_f32 v160, v116, v100, -v120
	v_mul_f32_e32 v116, v119, v109
	v_fmac_f32_e32 v158, v117, v100
	v_fmac_f32_e32 v148, v119, v108
	v_fma_f32 v150, v118, v108, -v116
	ds_read2_b64 v[116:119], v129 offset0:80 offset1:136
	s_waitcnt lgkmcnt(0)
	v_mul_f32_e32 v120, v119, v89
	v_mul_f32_e32 v230, v118, v89
	v_fma_f32 v228, v118, v88, -v120
	v_fmac_f32_e32 v230, v119, v88
	v_sub_f32_e32 v119, v222, v133
	v_sub_f32_e32 v120, v228, v223
	;; [unrolled: 1-line block ×5, first 2 shown]
	v_add_f32_e32 v227, v120, v121
	ds_read2_b64 v[120:123], v255 offset1:56
	v_add_f32_e32 v229, v118, v119
	s_waitcnt lgkmcnt(0)
	v_fma_f32 v124, -0.5, v124, v120
	v_fma_f32 v125, -0.5, v125, v121
	v_fmamk_f32 v118, v232, 0x3f737871, v124
	v_fmamk_f32 v119, v233, 0xbf737871, v125
	v_fmac_f32_e32 v124, 0xbf737871, v232
	v_fmac_f32_e32 v125, 0x3f737871, v233
	;; [unrolled: 1-line block ×10, first 2 shown]
	v_sub_f32_e32 v229, v179, v175
	ds_write_b64 v255, v[118:119] offset:3136
	v_add_f32_e32 v119, v121, v230
	v_add_f32_e32 v118, v120, v228
	;; [unrolled: 1-line block ×4, first 2 shown]
	v_sub_f32_e32 v223, v223, v228
	v_add_f32_e32 v228, v228, v224
	v_add_f32_e32 v119, v119, v133
	;; [unrolled: 1-line block ×3, first 2 shown]
	v_sub_f32_e32 v133, v133, v222
	v_fma_f32 v237, -0.5, v228, v120
	v_sub_f32_e32 v226, v226, v224
	v_add_f32_e32 v236, v119, v222
	v_add_f32_e32 v119, v230, v222
	;; [unrolled: 1-line block ×3, first 2 shown]
	v_sub_f32_e32 v118, v221, v230
	v_add_f32_e32 v120, v223, v226
	v_add_f32_e32 v228, v177, v175
	v_fma_f32 v238, -0.5, v119, v121
	v_add_f32_e32 v121, v118, v133
	v_fmamk_f32 v118, v231, 0xbf737871, v237
	v_fmac_f32_e32 v237, 0x3f737871, v231
	v_fmamk_f32 v119, v234, 0x3f737871, v238
	v_fmac_f32_e32 v238, 0xbf737871, v234
	v_sub_f32_e32 v133, v181, v178
	v_fmac_f32_e32 v118, 0x3f167918, v232
	v_fmac_f32_e32 v237, 0xbf167918, v232
	;; [unrolled: 1-line block ×4, first 2 shown]
	v_sub_f32_e32 v231, v174, v179
	v_fmac_f32_e32 v118, 0x3e9e377a, v120
	v_fmac_f32_e32 v237, 0x3e9e377a, v120
	;; [unrolled: 1-line block ×4, first 2 shown]
	v_sub_f32_e32 v233, v176, v181
	v_sub_f32_e32 v232, v177, v175
	;; [unrolled: 1-line block ×3, first 2 shown]
	ds_write_b64 v255, v[118:119] offset:6272
	ds_read2_b64 v[118:121], v255 offset0:112 offset1:168
	ds_read2_b64 v[221:224], v127 offset0:96 offset1:152
	ds_write_b64 v255, v[124:125] offset:12544
	v_add_f32_e32 v124, v122, v180
	v_add_f32_e32 v125, v123, v177
	ds_write_b64 v255, v[237:238] offset:9408
	ds_read_b64 v[226:227], v255 offset:15232
	v_add_f32_e32 v124, v124, v176
	v_add_f32_e32 v125, v125, v174
	;; [unrolled: 1-line block ×6, first 2 shown]
	v_sub_f32_e32 v175, v175, v179
	ds_write2_b64 v255, v[235:236], v[124:125] offset1:56
	v_add_f32_e32 v124, v176, v181
	v_add_f32_e32 v125, v180, v178
	v_fma_f32 v124, -0.5, v124, v122
	v_fma_f32 v122, -0.5, v125, v122
	v_sub_f32_e32 v125, v176, v180
	v_add_f32_e32 v133, v125, v133
	v_add_f32_e32 v125, v174, v179
	v_sub_f32_e32 v179, v168, v173
	v_fma_f32 v125, -0.5, v125, v123
	v_fmac_f32_e32 v123, -0.5, v228
	v_sub_f32_e32 v228, v174, v177
	v_sub_f32_e32 v174, v177, v174
	;; [unrolled: 1-line block ×3, first 2 shown]
	v_add_f32_e32 v230, v228, v229
	v_fmamk_f32 v228, v231, 0xbf737871, v122
	v_fmac_f32_e32 v122, 0x3f737871, v231
	v_fmamk_f32 v229, v233, 0x3f737871, v123
	v_fmac_f32_e32 v123, 0xbf737871, v233
	v_add_f32_e32 v174, v174, v175
	v_fmac_f32_e32 v228, 0x3f167918, v232
	v_fmac_f32_e32 v122, 0xbf167918, v232
	v_sub_f32_e32 v175, v171, v167
	v_fmac_f32_e32 v123, 0x3f167918, v234
	v_fmac_f32_e32 v229, 0xbf167918, v234
	;; [unrolled: 1-line block ×4, first 2 shown]
	v_sub_f32_e32 v133, v180, v176
	v_fmac_f32_e32 v123, 0x3e9e377a, v230
	v_sub_f32_e32 v176, v178, v181
	v_sub_f32_e32 v178, v169, v167
	;; [unrolled: 1-line block ×3, first 2 shown]
	v_fmac_f32_e32 v229, 0x3e9e377a, v230
	ds_write_b64 v255, v[122:123] offset:9856
	v_fmamk_f32 v122, v232, 0x3f737871, v124
	v_fmac_f32_e32 v124, 0xbf737871, v232
	v_fmamk_f32 v123, v234, 0xbf737871, v125
	v_fmac_f32_e32 v125, 0x3f737871, v234
	v_add_f32_e32 v133, v133, v176
	v_fmac_f32_e32 v122, 0x3f167918, v231
	v_fmac_f32_e32 v124, 0xbf167918, v231
	v_fmac_f32_e32 v123, 0xbf167918, v233
	v_fmac_f32_e32 v125, 0x3f167918, v233
	ds_write_b64 v255, v[228:229] offset:6720
	v_fmac_f32_e32 v122, 0x3e9e377a, v133
	v_fmac_f32_e32 v124, 0x3e9e377a, v133
	;; [unrolled: 1-line block ×4, first 2 shown]
	v_sub_f32_e32 v174, v166, v169
	ds_write_b64 v255, v[124:125] offset:12992
	v_sub_f32_e32 v124, v168, v172
	v_sub_f32_e32 v125, v173, v170
	v_add_f32_e32 v176, v174, v175
	v_add_f32_e32 v133, v124, v125
	;; [unrolled: 1-line block ×4, first 2 shown]
	s_waitcnt lgkmcnt(8)
	v_fma_f32 v124, -0.5, v124, v118
	v_fma_f32 v125, -0.5, v125, v119
	v_fmamk_f32 v174, v177, 0x3f737871, v124
	v_fmamk_f32 v175, v179, 0xbf737871, v125
	v_fmac_f32_e32 v124, 0xbf737871, v177
	v_fmac_f32_e32 v125, 0x3f737871, v179
	;; [unrolled: 1-line block ×10, first 2 shown]
	v_sub_f32_e32 v133, v149, v164
	ds_write2_b64 v129, v[122:123], v[174:175] offset0:192 offset1:248
	v_add_f32_e32 v122, v118, v168
	v_add_f32_e32 v123, v119, v166
	ds_write_b64 v255, v[124:125] offset:13440
	v_add_f32_e32 v122, v122, v172
	v_add_f32_e32 v123, v123, v169
	v_sub_f32_e32 v172, v172, v168
	v_add_f32_e32 v168, v168, v173
	v_sub_f32_e32 v169, v169, v166
	v_add_f32_e32 v166, v166, v171
	v_add_f32_e32 v123, v123, v167
	v_sub_f32_e32 v167, v167, v171
	v_fma_f32 v118, -0.5, v168, v118
	v_add_f32_e32 v122, v122, v170
	v_fma_f32 v119, -0.5, v166, v119
	v_sub_f32_e32 v170, v170, v173
	v_add_f32_e32 v169, v169, v167
	v_fmamk_f32 v166, v178, 0xbf737871, v118
	v_fmac_f32_e32 v118, 0x3f737871, v178
	v_fmamk_f32 v167, v180, 0x3f737871, v119
	v_fmac_f32_e32 v119, 0xbf737871, v180
	v_add_f32_e32 v168, v172, v170
	v_add_f32_e32 v122, v122, v173
	v_fmac_f32_e32 v118, 0xbf167918, v177
	v_add_f32_e32 v123, v123, v171
	v_fmac_f32_e32 v119, 0x3f167918, v179
	v_fmac_f32_e32 v167, 0xbf167918, v179
	;; [unrolled: 1-line block ×4, first 2 shown]
	v_sub_f32_e32 v170, v163, v155
	v_fmac_f32_e32 v119, 0x3e9e377a, v169
	v_fmac_f32_e32 v167, 0x3e9e377a, v169
	v_sub_f32_e32 v169, v151, v165
	v_fmac_f32_e32 v166, 0x3e9e377a, v168
	v_sub_f32_e32 v168, v161, v153
	ds_write_b64 v255, v[118:119] offset:10304
	v_add_f32_e32 v118, v120, v163
	v_add_f32_e32 v119, v121, v161
	;; [unrolled: 1-line block ×8, first 2 shown]
	ds_write2_b64 v255, v[122:123], v[118:119] offset0:112 offset1:168
	v_add_f32_e32 v118, v151, v165
	v_add_f32_e32 v119, v163, v155
	v_sub_f32_e32 v122, v165, v155
	v_sub_f32_e32 v123, v164, v153
	v_fma_f32 v118, -0.5, v118, v120
	v_fma_f32 v120, -0.5, v119, v120
	v_sub_f32_e32 v119, v151, v163
	v_add_f32_e32 v124, v119, v122
	v_add_f32_e32 v119, v149, v164
	;; [unrolled: 1-line block ×3, first 2 shown]
	v_fma_f32 v119, -0.5, v119, v121
	v_fmac_f32_e32 v121, -0.5, v122
	v_sub_f32_e32 v122, v149, v161
	v_add_f32_e32 v125, v122, v123
	v_fmamk_f32 v122, v133, 0xbf737871, v120
	v_fmamk_f32 v123, v169, 0x3f737871, v121
	v_fmac_f32_e32 v120, 0x3f737871, v133
	v_fmac_f32_e32 v121, 0xbf737871, v169
	;; [unrolled: 1-line block ×10, first 2 shown]
	v_sub_f32_e32 v124, v161, v149
	v_sub_f32_e32 v125, v153, v164
	ds_write2_b64 v126, v[166:167], v[122:123] offset0:128 offset1:184
	v_sub_f32_e32 v122, v163, v151
	ds_write_b64 v255, v[120:121] offset:10752
	v_sub_f32_e32 v123, v155, v165
	v_fmamk_f32 v120, v168, 0x3f737871, v118
	v_fmac_f32_e32 v118, 0xbf737871, v168
	v_fmamk_f32 v121, v170, 0xbf737871, v119
	v_fmac_f32_e32 v119, 0x3f737871, v170
	v_add_f32_e32 v122, v122, v123
	v_add_f32_e32 v123, v124, v125
	v_fmac_f32_e32 v118, 0xbf167918, v133
	v_fmac_f32_e32 v120, 0x3f167918, v133
	;; [unrolled: 1-line block ×4, first 2 shown]
	v_sub_f32_e32 v133, v144, v159
	v_fmac_f32_e32 v118, 0x3e9e377a, v122
	v_fmac_f32_e32 v120, 0x3e9e377a, v122
	;; [unrolled: 1-line block ×4, first 2 shown]
	v_sub_f32_e32 v122, v144, v156
	v_sub_f32_e32 v123, v159, v146
	;; [unrolled: 1-line block ×3, first 2 shown]
	ds_write_b64 v255, v[118:119] offset:13888
	v_sub_f32_e32 v118, v145, v157
	v_sub_f32_e32 v119, v162, v147
	v_add_f32_e32 v125, v122, v123
	v_sub_f32_e32 v149, v156, v146
	v_sub_f32_e32 v153, v157, v147
	v_add_f32_e32 v124, v118, v119
	v_add_f32_e32 v118, v157, v147
	;; [unrolled: 1-line block ×3, first 2 shown]
	s_waitcnt lgkmcnt(14)
	v_fma_f32 v118, -0.5, v118, v221
	v_fma_f32 v119, -0.5, v119, v222
	v_fmamk_f32 v122, v133, 0x3f737871, v118
	v_fmamk_f32 v123, v151, 0xbf737871, v119
	v_fmac_f32_e32 v118, 0xbf737871, v133
	v_fmac_f32_e32 v119, 0x3f737871, v151
	;; [unrolled: 1-line block ×10, first 2 shown]
	ds_write2_b64 v132, v[120:121], v[122:123] offset0:48 offset1:104
	v_add_f32_e32 v120, v221, v145
	v_add_f32_e32 v121, v222, v144
	;; [unrolled: 1-line block ×4, first 2 shown]
	ds_write_b64 v255, v[118:119] offset:14336
	v_add_f32_e32 v120, v120, v157
	v_add_f32_e32 v121, v121, v156
	;; [unrolled: 1-line block ×14, first 2 shown]
	v_fma_f32 v118, -0.5, v118, v223
	v_fma_f32 v223, -0.5, v119, v223
	v_sub_f32_e32 v119, v138, v154
	ds_write2_b64 v127, v[120:121], v[122:123] offset0:96 offset1:152
	v_add_f32_e32 v120, v145, v162
	v_add_f32_e32 v121, v144, v159
	v_sub_f32_e32 v122, v157, v145
	v_sub_f32_e32 v123, v147, v162
	;; [unrolled: 1-line block ×3, first 2 shown]
	v_fma_f32 v120, -0.5, v120, v221
	v_fma_f32 v121, -0.5, v121, v222
	v_sub_f32_e32 v144, v146, v159
	v_add_f32_e32 v146, v122, v123
	v_fmamk_f32 v122, v149, 0xbf737871, v120
	v_fmac_f32_e32 v120, 0x3f737871, v149
	v_fmamk_f32 v123, v153, 0x3f737871, v121
	v_fmac_f32_e32 v121, 0xbf737871, v153
	v_add_f32_e32 v144, v145, v144
	v_fmac_f32_e32 v122, 0x3f167918, v133
	v_fmac_f32_e32 v120, 0xbf167918, v133
	;; [unrolled: 1-line block ×4, first 2 shown]
	v_sub_f32_e32 v133, v136, v158
	v_sub_f32_e32 v145, v138, v160
	v_fmac_f32_e32 v120, 0x3e9e377a, v146
	v_fmac_f32_e32 v122, 0x3e9e377a, v146
	;; [unrolled: 1-line block ×4, first 2 shown]
	v_sub_f32_e32 v144, v152, v140
	v_sub_f32_e32 v146, v154, v142
	ds_write_b64 v255, v[120:121] offset:11200
	v_sub_f32_e32 v120, v160, v142
	v_sub_f32_e32 v121, v158, v140
	v_add_f32_e32 v124, v119, v120
	v_add_f32_e32 v119, v136, v158
	;; [unrolled: 1-line block ×3, first 2 shown]
	v_fma_f32 v119, -0.5, v119, v224
	v_fmac_f32_e32 v224, -0.5, v120
	v_sub_f32_e32 v120, v136, v152
	v_sub_f32_e32 v136, v152, v136
	v_add_f32_e32 v125, v120, v121
	v_fmamk_f32 v120, v133, 0xbf737871, v223
	v_fmamk_f32 v121, v145, 0x3f737871, v224
	v_fmac_f32_e32 v223, 0x3f737871, v133
	v_fmac_f32_e32 v224, 0xbf737871, v145
	;; [unrolled: 1-line block ×10, first 2 shown]
	v_sub_f32_e32 v124, v154, v138
	v_sub_f32_e32 v125, v142, v160
	ds_write2_b64 v134, v[122:123], v[120:121] offset0:112 offset1:168
	s_waitcnt lgkmcnt(16)
	v_mul_f32_e32 v120, v227, v111
	v_sub_f32_e32 v138, v140, v158
	v_fmamk_f32 v121, v146, 0xbf737871, v119
	v_fmac_f32_e32 v119, 0x3f737871, v146
	v_add_f32_e32 v124, v124, v125
	v_fma_f32 v122, v226, v110, -v120
	v_fmamk_f32 v120, v144, 0x3f737871, v118
	v_fmac_f32_e32 v118, 0xbf737871, v144
	v_add_f32_e32 v125, v136, v138
	v_fmac_f32_e32 v119, 0x3f167918, v145
	v_mul_f32_e32 v123, v226, v111
	v_fmac_f32_e32 v120, 0x3f167918, v133
	v_fmac_f32_e32 v118, 0xbf167918, v133
	ds_write_b64 v255, v[223:224] offset:11648
	v_fmac_f32_e32 v119, 0x3e9e377a, v125
	v_fmac_f32_e32 v123, v227, v110
	;; [unrolled: 1-line block ×5, first 2 shown]
	v_sub_f32_e32 v138, v139, v122
	v_sub_f32_e32 v133, v137, v123
	;; [unrolled: 1-line block ×3, first 2 shown]
	ds_write_b64 v255, v[118:119] offset:14784
	v_add_f32_e32 v118, v116, v139
	v_add_f32_e32 v119, v117, v137
	v_fmac_f32_e32 v121, 0x3e9e377a, v125
	v_sub_f32_e32 v140, v143, v150
	v_add_f32_e32 v118, v118, v143
	v_add_f32_e32 v119, v119, v141
	;; [unrolled: 1-line block ×6, first 2 shown]
	ds_write_b64 v255, v[118:119] offset:2688
	v_sub_f32_e32 v118, v139, v143
	v_sub_f32_e32 v119, v122, v150
	v_add_f32_e32 v124, v118, v119
	v_add_f32_e32 v118, v143, v150
	;; [unrolled: 1-line block ×3, first 2 shown]
	v_fma_f32 v223, -0.5, v118, v116
	v_fma_f32 v224, -0.5, v119, v117
	v_sub_f32_e32 v118, v137, v141
	v_sub_f32_e32 v119, v123, v148
	v_add_f32_e32 v125, v118, v119
	v_fmamk_f32 v118, v133, 0x3f737871, v223
	v_fmamk_f32 v119, v138, 0xbf737871, v224
	v_fmac_f32_e32 v223, 0xbf737871, v133
	v_fmac_f32_e32 v224, 0x3f737871, v138
	v_fmac_f32_e32 v118, 0x3f167918, v136
	v_fmac_f32_e32 v119, 0xbf167918, v140
	v_fmac_f32_e32 v223, 0xbf167918, v136
	v_fmac_f32_e32 v224, 0x3f167918, v140
	v_fmac_f32_e32 v118, 0x3e9e377a, v124
	v_fmac_f32_e32 v119, 0x3e9e377a, v125
	v_fmac_f32_e32 v223, 0x3e9e377a, v124
	v_fmac_f32_e32 v224, 0x3e9e377a, v125
	ds_write2_b64 v132, v[120:121], v[118:119] offset0:160 offset1:216
	v_add_f32_e32 v118, v139, v122
	v_add_f32_e32 v121, v137, v123
	v_sub_f32_e32 v119, v150, v122
	v_sub_f32_e32 v120, v141, v137
	v_sub_f32_e32 v122, v148, v123
	v_fma_f32 v116, -0.5, v118, v116
	v_fmac_f32_e32 v117, -0.5, v121
	v_sub_f32_e32 v118, v143, v139
	v_fmamk_f32 v221, v136, 0xbf737871, v116
	v_fmamk_f32 v222, v140, 0x3f737871, v117
	v_fmac_f32_e32 v116, 0x3f737871, v136
	v_fmac_f32_e32 v117, 0xbf737871, v140
	v_add_f32_e32 v118, v118, v119
	v_fmac_f32_e32 v221, 0x3f167918, v133
	v_add_f32_e32 v119, v120, v122
	v_fmac_f32_e32 v222, 0xbf167918, v138
	v_fmac_f32_e32 v116, 0xbf167918, v133
	;; [unrolled: 1-line block ×4, first 2 shown]
	v_lshlrev_b32_e32 v122, 3, v225
	v_fmac_f32_e32 v222, 0x3e9e377a, v119
	v_fmac_f32_e32 v116, 0x3e9e377a, v118
	v_fmac_f32_e32 v117, 0x3e9e377a, v119
	ds_write_b64 v255, v[221:222] offset:8960
	ds_write_b64 v255, v[116:117] offset:12096
	;; [unrolled: 1-line block ×3, first 2 shown]
	s_waitcnt lgkmcnt(0)
	s_waitcnt_vscnt null, 0x0
	s_barrier
	buffer_gl0_inv
	s_clause 0x3
	global_load_dwordx2 v[123:124], v122, s[4:5]
	global_load_dwordx2 v[136:137], v122, s[4:5] offset:448
	global_load_dwordx2 v[140:141], v122, s[4:5] offset:896
	global_load_dwordx2 v[142:143], v122, s[4:5] offset:1344
	ds_read2_b64 v[118:121], v255 offset1:56
	v_add_co_u32 v133, s1, s4, v122
	v_add_co_ci_u32_e64 v242, null, s5, 0, s1
	v_add_co_u32 v146, s1, 0x800, v133
	v_add_co_ci_u32_e64 v147, s1, 0, v242, s1
	s_waitcnt vmcnt(3) lgkmcnt(0)
	v_mul_f32_e32 v125, v119, v124
	v_mul_f32_e32 v139, v118, v124
	s_waitcnt vmcnt(2)
	v_mul_f32_e32 v145, v120, v137
	v_add_nc_u32_e32 v124, 0xc00, v255
	v_fma_f32 v138, v118, v123, -v125
	v_mul_f32_e32 v118, v121, v137
	v_fmac_f32_e32 v139, v119, v123
	v_fmac_f32_e32 v145, v121, v136
	v_fma_f32 v144, v120, v136, -v118
	v_add_co_u32 v118, s1, 0x1800, v133
	v_add_co_ci_u32_e64 v119, s1, 0, v242, s1
	ds_write_b64 v255, v[138:139]
	s_clause 0x3
	global_load_dwordx2 v[120:121], v[146:147], off offset:1872
	global_load_dwordx2 v[148:149], v[118:119], off offset:16
	;; [unrolled: 1-line block ×4, first 2 shown]
	ds_read2_b64 v[136:139], v124 offset0:106 offset1:162
	v_add_co_u32 v156, s1, 0x1000, v133
	v_add_co_ci_u32_e64 v157, s1, 0, v242, s1
	s_waitcnt vmcnt(3) lgkmcnt(0)
	v_mul_f32_e32 v123, v137, v121
	v_mul_f32_e32 v155, v136, v121
	v_fma_f32 v154, v136, v120, -v123
	v_fmac_f32_e32 v155, v137, v120
	v_add_co_u32 v120, s1, 0x2800, v133
	v_add_co_ci_u32_e64 v121, s1, 0, v242, s1
	s_clause 0x6
	global_load_dwordx2 v[136:137], v[156:157], off offset:272
	global_load_dwordx2 v[158:159], v[156:157], off offset:720
	;; [unrolled: 1-line block ×7, first 2 shown]
	s_waitcnt vmcnt(6)
	v_mul_f32_e32 v123, v139, v137
	v_mul_f32_e32 v165, v138, v137
	v_fma_f32 v164, v138, v136, -v123
	v_fmac_f32_e32 v165, v139, v136
	ds_read2_b64 v[136:139], v134 offset0:84 offset1:140
	s_waitcnt vmcnt(2) lgkmcnt(0)
	v_mul_f32_e32 v123, v137, v167
	v_mul_f32_e32 v173, v136, v167
	v_fma_f32 v172, v136, v166, -v123
	v_fmac_f32_e32 v173, v137, v166
	v_add_co_u32 v166, s1, 0x2000, v133
	v_add_co_ci_u32_e64 v167, s1, 0, v242, s1
	s_clause 0x4
	global_load_dwordx2 v[174:175], v[166:167], off offset:544
	global_load_dwordx2 v[176:177], v[166:167], off offset:992
	global_load_dwordx2 v[156:157], v[156:157], off offset:1616
	global_load_dwordx2 v[136:137], v[166:167], off offset:96
	global_load_dwordx2 v[180:181], v[120:121], off offset:1520
	s_waitcnt vmcnt(1)
	v_mul_f32_e32 v123, v139, v137
	v_mul_f32_e32 v179, v138, v137
	v_fma_f32 v178, v138, v136, -v123
	v_fmac_f32_e32 v179, v139, v136
	ds_read2_b64 v[136:139], v128 offset0:190 offset1:246
	s_waitcnt vmcnt(0) lgkmcnt(0)
	v_mul_f32_e32 v123, v137, v181
	v_mul_f32_e32 v227, v136, v181
	v_mul_f32_e32 v181, v138, v163
	v_fma_f32 v226, v136, v180, -v123
	v_mul_f32_e32 v123, v139, v163
	v_fmac_f32_e32 v227, v137, v180
	v_fmac_f32_e32 v181, v139, v162
	v_fma_f32 v180, v138, v162, -v123
	ds_read2_b64 v[136:139], v255 offset0:112 offset1:168
	s_waitcnt lgkmcnt(0)
	v_mul_f32_e32 v123, v137, v141
	v_mul_f32_e32 v163, v136, v141
	v_mul_f32_e32 v141, v138, v143
	v_fma_f32 v162, v136, v140, -v123
	v_mul_f32_e32 v123, v139, v143
	v_fmac_f32_e32 v163, v137, v140
	v_fmac_f32_e32 v141, v139, v142
	v_fma_f32 v140, v138, v142, -v123
	ds_read2_b64 v[136:139], v132 offset0:90 offset1:146
	s_waitcnt lgkmcnt(0)
	;; [unrolled: 10-line block ×3, first 2 shown]
	v_mul_f32_e32 v123, v137, v175
	v_mul_f32_e32 v161, v136, v175
	;; [unrolled: 1-line block ×3, first 2 shown]
	v_fma_f32 v160, v136, v174, -v123
	v_mul_f32_e32 v123, v139, v177
	v_fmac_f32_e32 v161, v137, v174
	v_fmac_f32_e32 v175, v139, v176
	v_fma_f32 v174, v138, v176, -v123
	v_add_co_u32 v176, s1, 0x3000, v133
	v_add_co_ci_u32_e64 v177, s1, 0, v242, s1
	s_clause 0x2
	global_load_dwordx2 v[228:229], v[176:177], off offset:368
	global_load_dwordx2 v[230:231], v[176:177], off offset:816
	;; [unrolled: 1-line block ×3, first 2 shown]
	ds_read2_b64 v[136:139], v130 offset0:46 offset1:102
	s_waitcnt vmcnt(2) lgkmcnt(0)
	v_mul_f32_e32 v123, v137, v229
	v_mul_f32_e32 v235, v136, v229
	s_waitcnt vmcnt(1)
	v_mul_f32_e32 v229, v138, v231
	v_fma_f32 v234, v136, v228, -v123
	v_mul_f32_e32 v123, v139, v231
	v_fmac_f32_e32 v235, v137, v228
	v_fmac_f32_e32 v229, v139, v230
	v_fma_f32 v228, v138, v230, -v123
	s_clause 0x3
	global_load_dwordx2 v[230:231], v[146:147], off offset:192
	global_load_dwordx2 v[236:237], v[146:147], off offset:640
	;; [unrolled: 1-line block ×3, first 2 shown]
	global_load_dwordx2 v[122:123], v122, s[4:5] offset:1792
	ds_read2_b64 v[136:139], v127 offset0:96 offset1:152
	s_waitcnt vmcnt(3) lgkmcnt(0)
	v_mul_f32_e32 v241, v138, v231
	s_waitcnt vmcnt(0)
	v_mul_f32_e32 v125, v137, v123
	v_mul_f32_e32 v239, v136, v123
	v_fmac_f32_e32 v241, v139, v230
	v_fma_f32 v238, v136, v122, -v125
	v_fmac_f32_e32 v239, v137, v122
	v_mul_f32_e32 v122, v139, v231
	v_add_nc_u32_e32 v125, 0x1400, v255
	v_fma_f32 v240, v138, v230, -v122
	ds_read2_b64 v[136:139], v125 offset0:74 offset1:130
	s_waitcnt lgkmcnt(0)
	v_mul_f32_e32 v122, v137, v157
	v_mul_f32_e32 v231, v136, v157
	;; [unrolled: 1-line block ×3, first 2 shown]
	v_fma_f32 v230, v136, v156, -v122
	v_mul_f32_e32 v122, v139, v149
	v_fmac_f32_e32 v231, v137, v156
	v_fmac_f32_e32 v157, v139, v148
	v_fma_f32 v156, v138, v148, -v122
	global_load_dwordx2 v[122:123], v[166:167], off offset:1440
	ds_read2_b64 v[136:139], v131 offset0:180 offset1:236
	s_waitcnt lgkmcnt(0)
	v_mul_f32_e32 v167, v138, v233
	v_fmac_f32_e32 v167, v139, v232
	s_waitcnt vmcnt(0)
	v_mul_f32_e32 v148, v137, v123
	v_mul_f32_e32 v149, v136, v123
	v_fma_f32 v148, v136, v122, -v148
	v_fmac_f32_e32 v149, v137, v122
	v_mul_f32_e32 v122, v139, v233
	v_fma_f32 v166, v138, v232, -v122
	v_add_co_u32 v122, s1, 0x3800, v133
	v_add_co_ci_u32_e64 v123, s1, 0, v242, s1
	s_clause 0x3
	global_load_dwordx2 v[232:233], v[176:177], off offset:1264
	global_load_dwordx2 v[176:177], v[176:177], off offset:1712
	;; [unrolled: 1-line block ×4, first 2 shown]
	ds_read2_b64 v[136:139], v130 offset0:158 offset1:214
	s_waitcnt vmcnt(3) lgkmcnt(0)
	v_mul_f32_e32 v133, v137, v233
	v_mul_f32_e32 v247, v136, v233
	s_waitcnt vmcnt(2)
	v_mul_f32_e32 v233, v138, v177
	v_fma_f32 v246, v136, v232, -v133
	v_mul_f32_e32 v133, v139, v177
	v_fmac_f32_e32 v247, v137, v232
	v_fmac_f32_e32 v233, v139, v176
	v_fma_f32 v232, v138, v176, -v133
	ds_read2_b64 v[136:139], v129 offset0:80 offset1:136
	s_waitcnt lgkmcnt(0)
	v_mul_f32_e32 v133, v137, v237
	v_mul_f32_e32 v177, v136, v237
	v_mul_f32_e32 v237, v138, v147
	v_fma_f32 v176, v136, v236, -v133
	v_mul_f32_e32 v133, v139, v147
	v_fmac_f32_e32 v177, v137, v236
	v_fmac_f32_e32 v237, v139, v146
	v_fma_f32 v236, v138, v146, -v133
	ds_read2_b64 v[136:139], v126 offset0:58 offset1:114
	s_waitcnt lgkmcnt(0)
	v_mul_f32_e32 v133, v137, v151
	v_mul_f32_e32 v147, v136, v151
	;; [unrolled: 10-line block ×3, first 2 shown]
	v_mul_f32_e32 v169, v138, v171
	v_fma_f32 v152, v136, v168, -v133
	v_mul_f32_e32 v133, v139, v171
	v_fmac_f32_e32 v153, v137, v168
	v_fmac_f32_e32 v169, v139, v170
	v_fma_f32 v168, v138, v170, -v133
	ds_read2_b64 v[136:139], v135 offset0:14 offset1:70
	s_waitcnt vmcnt(1) lgkmcnt(0)
	v_mul_f32_e32 v133, v137, v243
	v_mul_f32_e32 v171, v136, v243
	v_fma_f32 v170, v136, v242, -v133
	s_waitcnt vmcnt(0)
	v_mul_f32_e32 v133, v139, v245
	v_fmac_f32_e32 v171, v137, v242
	v_mul_f32_e32 v137, v138, v245
	v_fma_f32 v136, v138, v244, -v133
	v_add_nc_u32_e32 v133, 0x2c00, v255
	v_fmac_f32_e32 v137, v139, v244
	ds_write2_b64 v133, v[180:181], v[234:235] offset0:118 offset1:174
	v_add_nc_u32_e32 v133, 0x2400, v255
	ds_write2_b64 v133, v[166:167], v[152:153] offset0:108 offset1:164
	v_add_nc_u32_e32 v133, 0x3400, v255
	ds_write2_b64 v133, v[232:233], v[170:171] offset0:86 offset1:142
	ds_write2_b64 v255, v[144:145], v[162:163] offset0:56 offset1:112
	;; [unrolled: 1-line block ×13, first 2 shown]
	ds_write_b64 v255, v[136:137] offset:14896
	s_and_saveexec_b32 s1, vcc_lo
	s_cbranch_execz .LBB0_13
; %bb.12:
	v_lshlrev_b32_e32 v133, 3, v188
	s_clause 0x3
	global_load_dwordx2 v[135:136], v133, s[4:5]
	global_load_dwordx2 v[118:119], v[118:119], off offset:1360
	global_load_dwordx2 v[120:121], v[120:121], off offset:1184
	;; [unrolled: 1-line block ×3, first 2 shown]
	ds_read_b64 v[137:138], v255 offset:3584
	ds_read_b64 v[139:140], v255 offset:7504
	;; [unrolled: 1-line block ×4, first 2 shown]
	s_waitcnt vmcnt(3) lgkmcnt(3)
	v_mul_f32_e32 v133, v138, v136
	v_mul_f32_e32 v146, v137, v136
	s_waitcnt vmcnt(2) lgkmcnt(2)
	v_mul_f32_e32 v147, v140, v119
	v_mul_f32_e32 v136, v139, v119
	;; [unrolled: 3-line block ×4, first 2 shown]
	v_fma_f32 v145, v137, v135, -v133
	v_fmac_f32_e32 v146, v138, v135
	v_fma_f32 v135, v139, v118, -v147
	v_fmac_f32_e32 v136, v140, v118
	;; [unrolled: 2-line block ×4, first 2 shown]
	ds_write_b64 v255, v[145:146] offset:3584
	ds_write_b64 v255, v[135:136] offset:7504
	;; [unrolled: 1-line block ×4, first 2 shown]
.LBB0_13:
	s_or_b32 exec_lo, exec_lo, s1
	s_waitcnt lgkmcnt(0)
	s_barrier
	buffer_gl0_inv
	ds_read2_b64 v[166:169], v255 offset1:56
	ds_read2_b64 v[170:173], v124 offset0:106 offset1:162
	ds_read2_b64 v[178:181], v134 offset0:84 offset1:140
	;; [unrolled: 1-line block ×15, first 2 shown]
	s_and_saveexec_b32 s1, vcc_lo
	s_cbranch_execz .LBB0_15
; %bb.14:
	ds_read_b64 v[221:222], v255 offset:3584
	ds_read_b64 v[116:117], v255 offset:7504
	;; [unrolled: 1-line block ×4, first 2 shown]
.LBB0_15:
	s_or_b32 exec_lo, exec_lo, s1
	s_waitcnt lgkmcnt(13)
	v_sub_f32_e32 v179, v167, v179
	s_waitcnt lgkmcnt(12)
	v_sub_f32_e32 v175, v171, v175
	v_sub_f32_e32 v180, v168, v180
	;; [unrolled: 1-line block ×5, first 2 shown]
	v_fma_f32 v227, v167, 2.0, -v179
	v_fma_f32 v167, v171, 2.0, -v175
	v_sub_f32_e32 v181, v169, v181
	v_sub_f32_e32 v176, v173, v177
	v_fma_f32 v177, v168, 2.0, -v180
	v_fma_f32 v171, v172, 2.0, -v228
	;; [unrolled: 1-line block ×6, first 2 shown]
	v_add_f32_e32 v168, v178, v175
	v_sub_f32_e32 v169, v179, v174
	v_sub_f32_e32 v174, v177, v171
	;; [unrolled: 1-line block ×5, first 2 shown]
	v_fma_f32 v172, v178, 2.0, -v168
	v_fma_f32 v178, v177, 2.0, -v174
	s_waitcnt lgkmcnt(9)
	v_sub_f32_e32 v162, v150, v162
	s_waitcnt lgkmcnt(8)
	v_sub_f32_e32 v158, v154, v158
	v_sub_f32_e32 v177, v181, v228
	v_sub_f32_e32 v163, v151, v163
	v_sub_f32_e32 v159, v155, v159
	v_sub_f32_e32 v164, v152, v164
	v_sub_f32_e32 v228, v156, v160
	v_fma_f32 v170, v226, 2.0, -v166
	v_fma_f32 v171, v227, 2.0, -v167
	;; [unrolled: 1-line block ×6, first 2 shown]
	v_sub_f32_e32 v165, v153, v165
	v_sub_f32_e32 v160, v157, v161
	v_fma_f32 v161, v152, 2.0, -v164
	v_fma_f32 v155, v156, 2.0, -v228
	;; [unrolled: 1-line block ×4, first 2 shown]
	v_sub_f32_e32 v150, v226, v150
	v_sub_f32_e32 v151, v227, v151
	v_fma_f32 v229, v153, 2.0, -v165
	v_fma_f32 v156, v157, 2.0, -v160
	v_add_f32_e32 v152, v162, v159
	v_sub_f32_e32 v153, v163, v158
	v_sub_f32_e32 v158, v161, v155
	s_waitcnt lgkmcnt(5)
	v_sub_f32_e32 v146, v134, v146
	s_waitcnt lgkmcnt(4)
	v_sub_f32_e32 v142, v138, v142
	v_sub_f32_e32 v147, v135, v147
	;; [unrolled: 1-line block ×3, first 2 shown]
	v_fma_f32 v154, v226, 2.0, -v150
	v_sub_f32_e32 v159, v229, v156
	v_fma_f32 v155, v227, 2.0, -v151
	v_fma_f32 v156, v162, 2.0, -v152
	;; [unrolled: 1-line block ×3, first 2 shown]
	v_sub_f32_e32 v161, v165, v228
	v_fma_f32 v226, v134, 2.0, -v146
	v_fma_f32 v134, v138, 2.0, -v142
	;; [unrolled: 1-line block ×4, first 2 shown]
	v_sub_f32_e32 v148, v136, v148
	v_sub_f32_e32 v228, v140, v144
	;; [unrolled: 1-line block ×6, first 2 shown]
	v_fma_f32 v145, v136, 2.0, -v148
	v_fma_f32 v139, v140, 2.0, -v228
	;; [unrolled: 1-line block ×6, first 2 shown]
	v_sub_f32_e32 v137, v147, v142
	v_sub_f32_e32 v142, v145, v139
	v_fma_f32 v139, v227, 2.0, -v135
	s_waitcnt lgkmcnt(1)
	v_sub_f32_e32 v227, v118, v126
	s_waitcnt lgkmcnt(0)
	v_sub_f32_e32 v226, v122, v130
	v_fma_f32 v140, v141, 2.0, -v144
	v_add_f32_e32 v136, v146, v143
	v_sub_f32_e32 v232, v120, v128
	v_fma_f32 v118, v118, 2.0, -v227
	v_fma_f32 v122, v122, 2.0, -v226
	v_sub_f32_e32 v143, v229, v140
	v_lshlrev_b32_e32 v248, 5, v225
	v_fma_f32 v141, v147, 2.0, -v137
	v_fma_f32 v120, v120, 2.0, -v232
	v_sub_f32_e32 v126, v118, v122
	v_sub_f32_e32 v122, v124, v132
	v_fma_f32 v147, v229, 2.0, -v143
	v_sub_f32_e32 v229, v119, v127
	s_barrier
	v_fma_f32 v124, v124, 2.0, -v122
	buffer_gl0_inv
	ds_write_b128 v248, v[170:173]
	ds_write_b128 v248, v[166:169] offset:16
	v_fma_f32 v130, v118, 2.0, -v126
	v_sub_f32_e32 v118, v121, v129
	v_sub_f32_e32 v129, v229, v226
	;; [unrolled: 1-line block ×3, first 2 shown]
	buffer_load_dword v124, off, s[20:23], 0 offset:264 ; 4-byte Folded Reload
	v_add_f32_e32 v176, v180, v176
	v_fma_f32 v181, v181, 2.0, -v177
	v_add_f32_e32 v160, v164, v160
	v_fma_f32 v165, v165, 2.0, -v161
	v_fma_f32 v140, v146, 2.0, -v136
	v_fma_f32 v180, v180, 2.0, -v176
	v_fma_f32 v146, v145, 2.0, -v142
	v_fma_f32 v164, v164, 2.0, -v160
	v_add_f32_e32 v144, v148, v144
	v_sub_f32_e32 v145, v149, v228
	v_sub_f32_e32 v131, v123, v131
	v_fma_f32 v119, v119, 2.0, -v229
	v_fma_f32 v231, v121, 2.0, -v118
	;; [unrolled: 1-line block ×5, first 2 shown]
	v_add_f32_e32 v128, v227, v131
	v_fma_f32 v230, v120, 2.0, -v226
	v_sub_f32_e32 v120, v221, v223
	s_waitcnt vmcnt(0)
	ds_write_b128 v124, v[178:181]
	ds_write_b128 v124, v[174:177] offset:16
	buffer_load_dword v124, off, s[20:23], 0 offset:268 ; 4-byte Folded Reload
	v_sub_f32_e32 v127, v119, v123
	v_sub_f32_e32 v123, v125, v133
	v_fma_f32 v132, v227, 2.0, -v128
	v_fma_f32 v133, v229, 2.0, -v129
	v_sub_f32_e32 v229, v118, v122
	v_fma_f32 v131, v119, 2.0, -v127
	v_fma_f32 v121, v125, 2.0, -v123
	v_add_f32_e32 v228, v232, v123
	v_sub_f32_e32 v123, v117, v220
	v_sub_f32_e32 v122, v116, v219
	v_fma_f32 v233, v118, 2.0, -v229
	v_sub_f32_e32 v227, v231, v121
	v_sub_f32_e32 v121, v222, v224
	v_fma_f32 v232, v232, 2.0, -v228
	v_add_f32_e32 v118, v123, v120
	s_waitcnt vmcnt(0)
	ds_write_b128 v124, v[154:157]
	ds_write_b128 v124, v[150:153] offset:16
	buffer_load_dword v124, off, s[20:23], 0 offset:272 ; 4-byte Folded Reload
	v_fma_f32 v231, v231, 2.0, -v227
	v_sub_f32_e32 v119, v121, v122
	s_waitcnt vmcnt(0)
	ds_write_b128 v124, v[162:165]
	ds_write_b128 v124, v[158:161] offset:16
	buffer_load_dword v124, off, s[20:23], 0 offset:276 ; 4-byte Folded Reload
	s_waitcnt vmcnt(0)
	ds_write_b128 v124, v[138:141]
	ds_write_b128 v124, v[134:137] offset:16
	buffer_load_dword v124, off, s[20:23], 0 offset:280 ; 4-byte Folded Reload
	;; [unrolled: 4-line block ×4, first 2 shown]
	s_waitcnt vmcnt(0)
	ds_write_b128 v124, v[230:233]
	ds_write_b128 v124, v[226:229] offset:16
	s_and_saveexec_b32 s1, vcc_lo
	s_cbranch_execz .LBB0_17
; %bb.16:
	v_fma_f32 v124, v222, 2.0, -v121
	v_fma_f32 v117, v117, 2.0, -v123
	;; [unrolled: 1-line block ×6, first 2 shown]
	v_sub_f32_e32 v117, v124, v117
	v_sub_f32_e32 v116, v125, v116
	v_fma_f32 v121, v124, 2.0, -v117
	v_lshlrev_b32_e32 v124, 5, v188
	v_fma_f32 v120, v125, 2.0, -v116
	ds_write_b128 v124, v[120:123]
	ds_write_b128 v124, v[116:119] offset:16
.LBB0_17:
	s_or_b32 exec_lo, exec_lo, s1
	v_add_nc_u32_e32 v128, 0x400, v255
	v_add_nc_u32_e32 v144, 0x1000, v255
	s_waitcnt lgkmcnt(0)
	s_barrier
	buffer_gl0_inv
	ds_read2_b64 v[133:136], v255 offset1:56
	ds_read2_b64 v[120:123], v128 offset0:96 offset1:152
	ds_read2_b64 v[137:140], v144 offset0:48 offset1:104
	v_add_nc_u32_e32 v145, 0x1800, v255
	v_add_nc_u32_e32 v129, 0x2000, v255
	;; [unrolled: 1-line block ×5, first 2 shown]
	ds_read2_b64 v[149:152], v145 offset0:16 offset1:72
	ds_read2_b64 v[153:156], v129 offset0:96 offset1:152
	;; [unrolled: 1-line block ×7, first 2 shown]
	v_add_nc_u32_e32 v132, 0x2400, v255
	v_add_nc_u32_e32 v176, 0x3800, v255
	;; [unrolled: 1-line block ×3, first 2 shown]
	ds_read2_b64 v[124:127], v255 offset0:112 offset1:168
	ds_read2_b64 v[219:222], v144 offset0:160 offset1:216
	;; [unrolled: 1-line block ×3, first 2 shown]
	ds_read2_b64 v[230:233], v176 offset1:56
	ds_read2_b64 v[234:237], v148 offset0:192 offset1:248
	ds_read2_b64 v[238:241], v116 offset0:112 offset1:168
	;; [unrolled: 1-line block ×3, first 2 shown]
	ds_read_b64 v[116:117], v255 offset:15232
	s_waitcnt lgkmcnt(0)
	s_barrier
	buffer_gl0_inv
	v_mul_f32_e32 v130, v9, v123
	v_mul_f32_e32 v131, v9, v122
	;; [unrolled: 1-line block ×5, first 2 shown]
	v_fmac_f32_e32 v130, v8, v122
	v_fma_f32 v122, v8, v123, -v131
	v_fmac_f32_e32 v141, v10, v137
	v_fma_f32 v123, v10, v138, -v142
	v_fmac_f32_e32 v143, v4, v151
	v_mul_f32_e32 v131, v5, v151
	v_mul_f32_e32 v137, v7, v154
	;; [unrolled: 1-line block ×5, first 2 shown]
	v_fma_f32 v131, v4, v152, -v131
	v_fmac_f32_e32 v137, v6, v153
	v_fma_f32 v138, v6, v154, -v138
	v_fmac_f32_e32 v142, v0, v159
	v_fma_f32 v151, v0, v160, -v151
	v_mul_f32_e32 v152, v3, v162
	v_mul_f32_e32 v153, v3, v161
	;; [unrolled: 1-line block ×5, first 2 shown]
	v_fmac_f32_e32 v152, v2, v161
	v_fma_f32 v153, v2, v162, -v153
	v_fmac_f32_e32 v154, v8, v165
	v_fma_f32 v159, v8, v166, -v159
	v_fmac_f32_e32 v160, v10, v139
	v_mul_f32_e32 v139, v11, v139
	v_mul_f32_e32 v161, v5, v170
	;; [unrolled: 1-line block ×5, first 2 shown]
	v_fma_f32 v139, v10, v140, -v139
	v_fmac_f32_e32 v161, v4, v169
	v_fma_f32 v140, v4, v170, -v162
	v_fmac_f32_e32 v165, v6, v155
	v_fma_f32 v155, v6, v156, -v166
	v_mul_f32_e32 v166, v3, v164
	v_mul_f32_e32 v169, v3, v163
	v_mul_f32_e32 v170, v9, v168
	v_mul_f32_e32 v174, v5, v171
	v_mul_f32_e32 v173, v5, v172
	v_fmac_f32_e32 v166, v2, v163
	v_fma_f32 v163, v2, v164, -v169
	v_fmac_f32_e32 v170, v8, v167
	v_mul_f32_e32 v164, v9, v167
	v_mul_f32_e32 v167, v11, v220
	;; [unrolled: 1-line block ×3, first 2 shown]
	v_fmac_f32_e32 v173, v4, v171
	v_mul_f32_e32 v171, v7, v227
	v_fma_f32 v164, v8, v168, -v164
	v_fmac_f32_e32 v167, v10, v219
	v_fma_f32 v168, v10, v220, -v169
	v_fma_f32 v169, v4, v172, -v174
	v_mul_f32_e32 v172, v7, v226
	v_mul_f32_e32 v219, v11, v221
	;; [unrolled: 1-line block ×5, first 2 shown]
	v_fma_f32 v172, v6, v227, -v172
	v_fma_f32 v219, v10, v222, -v219
	v_mul_f32_e32 v222, v7, v229
	v_mul_f32_e32 v227, v3, v233
	;; [unrolled: 1-line block ×5, first 2 shown]
	v_fma_f32 v175, v0, v180, -v175
	v_mul_f32_e32 v180, v9, v234
	v_fmac_f32_e32 v181, v10, v221
	v_mul_f32_e32 v220, v5, v239
	v_mul_f32_e32 v221, v5, v238
	v_fmac_f32_e32 v222, v6, v228
	v_fma_f32 v223, v6, v229, -v223
	v_mul_f32_e32 v228, v3, v232
	v_mul_f32_e32 v229, v9, v237
	v_fmac_f32_e32 v227, v2, v232
	v_mul_f32_e32 v232, v5, v241
	v_mul_f32_e32 v5, v5, v240
	v_fmac_f32_e32 v156, v0, v177
	v_fma_f32 v162, v0, v178, -v162
	v_mul_f32_e32 v177, v3, v231
	v_fmac_f32_e32 v171, v6, v226
	v_fmac_f32_e32 v174, v0, v179
	v_mul_f32_e32 v178, v3, v230
	v_mul_f32_e32 v179, v9, v235
	v_fma_f32 v180, v8, v235, -v180
	v_mul_f32_e32 v224, v1, v243
	v_fmac_f32_e32 v220, v4, v238
	v_fma_f32 v221, v4, v239, -v221
	v_mul_f32_e32 v226, v1, v242
	v_mul_f32_e32 v9, v9, v236
	v_fmac_f32_e32 v229, v8, v236
	v_fmac_f32_e32 v232, v4, v240
	v_fma_f32 v235, v4, v241, -v5
	v_mul_f32_e32 v4, v7, v157
	v_mul_f32_e32 v236, v1, v245
	;; [unrolled: 1-line block ×3, first 2 shown]
	v_fmac_f32_e32 v177, v2, v230
	v_fma_f32 v178, v2, v231, -v178
	v_fmac_f32_e32 v179, v8, v234
	v_fmac_f32_e32 v224, v0, v242
	v_fma_f32 v226, v0, v243, -v226
	v_fma_f32 v228, v2, v233, -v228
	v_fma_f32 v230, v8, v237, -v9
	v_mul_f32_e32 v231, v11, v150
	v_mul_f32_e32 v8, v11, v149
	;; [unrolled: 1-line block ×5, first 2 shown]
	v_fma_f32 v238, v6, v158, -v4
	v_fmac_f32_e32 v236, v0, v244
	v_fma_f32 v239, v0, v245, -v1
	v_add_f32_e32 v0, v130, v152
	v_add_f32_e32 v1, v122, v153
	;; [unrolled: 1-line block ×4, first 2 shown]
	v_fmac_f32_e32 v231, v10, v149
	v_fma_f32 v234, v10, v150, -v8
	v_fmac_f32_e32 v233, v6, v157
	v_fmac_f32_e32 v237, v2, v116
	v_fma_f32 v116, v2, v117, -v3
	v_sub_f32_e32 v2, v130, v152
	v_sub_f32_e32 v3, v122, v153
	;; [unrolled: 1-line block ×4, first 2 shown]
	v_add_f32_e32 v8, v143, v137
	v_add_f32_e32 v9, v131, v138
	v_sub_f32_e32 v10, v137, v143
	v_sub_f32_e32 v11, v138, v131
	v_add_f32_e32 v117, v4, v0
	v_add_f32_e32 v122, v5, v1
	v_sub_f32_e32 v123, v4, v0
	v_sub_f32_e32 v130, v5, v1
	;; [unrolled: 1-line block ×6, first 2 shown]
	v_add_f32_e32 v0, v10, v6
	v_add_f32_e32 v1, v11, v7
	v_sub_f32_e32 v138, v10, v6
	v_sub_f32_e32 v141, v11, v7
	;; [unrolled: 1-line block ×3, first 2 shown]
	v_add_f32_e32 v8, v8, v117
	v_add_f32_e32 v9, v9, v122
	v_sub_f32_e32 v7, v7, v3
	v_sub_f32_e32 v10, v2, v10
	;; [unrolled: 1-line block ×3, first 2 shown]
	v_add_f32_e32 v2, v0, v2
	v_add_f32_e32 v3, v1, v3
	;; [unrolled: 1-line block ×4, first 2 shown]
	v_mul_f32_e32 v117, 0x3f4a47b2, v131
	v_mul_f32_e32 v122, 0x3f4a47b2, v137
	;; [unrolled: 1-line block ×8, first 2 shown]
	v_fmamk_f32 v8, v8, 0xbf955555, v0
	v_fmamk_f32 v9, v9, 0xbf955555, v1
	;; [unrolled: 1-line block ×4, first 2 shown]
	v_fma_f32 v131, 0x3f3bfb3b, v123, -v131
	v_fma_f32 v133, 0x3f3bfb3b, v130, -v133
	;; [unrolled: 1-line block ×4, first 2 shown]
	v_fmamk_f32 v123, v10, 0xbeae86e6, v134
	v_fmamk_f32 v130, v11, 0xbeae86e6, v137
	v_fma_f32 v134, 0xbf5ff5aa, v6, -v134
	v_fma_f32 v137, 0xbf5ff5aa, v7, -v137
	;; [unrolled: 1-line block ×4, first 2 shown]
	v_add_f32_e32 v141, v4, v8
	v_add_f32_e32 v11, v131, v8
	;; [unrolled: 1-line block ×5, first 2 shown]
	v_fmac_f32_e32 v130, 0xbee1c552, v3
	v_fmac_f32_e32 v134, 0xbee1c552, v2
	;; [unrolled: 1-line block ×5, first 2 shown]
	v_add_f32_e32 v142, v5, v9
	v_fmac_f32_e32 v123, 0xbee1c552, v2
	v_add_f32_e32 v2, v130, v141
	v_add_f32_e32 v4, v10, v117
	v_sub_f32_e32 v5, v122, v138
	v_sub_f32_e32 v6, v11, v137
	v_add_f32_e32 v7, v134, v131
	v_add_f32_e32 v8, v137, v11
	v_sub_f32_e32 v9, v131, v134
	v_sub_f32_e32 v10, v117, v10
	v_add_f32_e32 v11, v138, v122
	v_sub_f32_e32 v122, v141, v130
	v_add_f32_e32 v117, v154, v166
	v_add_f32_e32 v130, v159, v163
	;; [unrolled: 1-line block ×4, first 2 shown]
	v_sub_f32_e32 v3, v142, v123
	v_add_f32_e32 v123, v123, v142
	v_sub_f32_e32 v131, v154, v166
	v_sub_f32_e32 v133, v159, v163
	;; [unrolled: 1-line block ×4, first 2 shown]
	v_add_f32_e32 v141, v161, v165
	v_add_f32_e32 v142, v140, v155
	v_sub_f32_e32 v143, v165, v161
	v_sub_f32_e32 v140, v155, v140
	v_add_f32_e32 v149, v134, v117
	v_add_f32_e32 v150, v137, v130
	v_sub_f32_e32 v151, v134, v117
	v_sub_f32_e32 v152, v137, v130
	;; [unrolled: 1-line block ×6, first 2 shown]
	v_add_f32_e32 v130, v143, v138
	v_add_f32_e32 v154, v140, v139
	v_sub_f32_e32 v155, v143, v138
	v_sub_f32_e32 v156, v140, v139
	;; [unrolled: 1-line block ×3, first 2 shown]
	v_add_f32_e32 v141, v141, v149
	v_add_f32_e32 v142, v142, v150
	v_sub_f32_e32 v139, v139, v133
	v_sub_f32_e32 v143, v131, v143
	;; [unrolled: 1-line block ×3, first 2 shown]
	v_add_f32_e32 v149, v130, v131
	v_add_f32_e32 v133, v154, v133
	;; [unrolled: 1-line block ×4, first 2 shown]
	v_mul_f32_e32 v117, 0x3f4a47b2, v117
	v_mul_f32_e32 v135, 0x3f4a47b2, v153
	;; [unrolled: 1-line block ×8, first 2 shown]
	v_fmamk_f32 v141, v141, 0xbf955555, v130
	v_fmamk_f32 v142, v142, 0xbf955555, v131
	;; [unrolled: 1-line block ×4, first 2 shown]
	v_fma_f32 v136, 0x3f3bfb3b, v151, -v136
	v_fma_f32 v150, 0x3f3bfb3b, v152, -v150
	;; [unrolled: 1-line block ×4, first 2 shown]
	v_fmamk_f32 v151, v143, 0xbeae86e6, v153
	v_fmamk_f32 v152, v140, 0xbeae86e6, v154
	v_fma_f32 v153, 0xbf5ff5aa, v138, -v153
	v_fma_f32 v139, 0xbf5ff5aa, v139, -v154
	v_fma_f32 v143, 0x3eae86e6, v143, -v155
	v_fma_f32 v154, 0x3eae86e6, v140, -v156
	v_add_f32_e32 v156, v137, v142
	v_add_f32_e32 v140, v136, v141
	;; [unrolled: 1-line block ×5, first 2 shown]
	v_fmac_f32_e32 v153, 0xbee1c552, v149
	v_fmac_f32_e32 v154, 0xbee1c552, v133
	;; [unrolled: 1-line block ×4, first 2 shown]
	v_add_f32_e32 v155, v134, v141
	v_fmac_f32_e32 v151, 0xbee1c552, v149
	v_fmac_f32_e32 v152, 0xbee1c552, v133
	v_add_f32_e32 v135, v154, v117
	v_sub_f32_e32 v136, v142, v143
	v_sub_f32_e32 v137, v140, v139
	v_add_f32_e32 v138, v153, v150
	v_add_f32_e32 v139, v139, v140
	v_sub_f32_e32 v140, v150, v153
	v_sub_f32_e32 v141, v117, v154
	v_add_f32_e32 v142, v143, v142
	v_add_f32_e32 v117, v170, v177
	;; [unrolled: 1-line block ×6, first 2 shown]
	v_sub_f32_e32 v134, v156, v151
	v_sub_f32_e32 v149, v155, v152
	v_add_f32_e32 v150, v151, v156
	v_sub_f32_e32 v151, v170, v177
	v_sub_f32_e32 v152, v164, v178
	;; [unrolled: 1-line block ×4, first 2 shown]
	v_add_f32_e32 v157, v173, v171
	v_add_f32_e32 v158, v169, v172
	v_sub_f32_e32 v159, v171, v173
	v_sub_f32_e32 v160, v172, v169
	v_add_f32_e32 v161, v153, v117
	v_add_f32_e32 v162, v154, v143
	v_sub_f32_e32 v163, v153, v117
	v_sub_f32_e32 v164, v154, v143
	;; [unrolled: 1-line block ×6, first 2 shown]
	v_add_f32_e32 v165, v159, v155
	v_add_f32_e32 v166, v160, v156
	v_sub_f32_e32 v167, v159, v155
	v_sub_f32_e32 v168, v160, v156
	;; [unrolled: 1-line block ×3, first 2 shown]
	v_add_f32_e32 v157, v157, v161
	v_add_f32_e32 v158, v158, v162
	v_sub_f32_e32 v156, v156, v152
	v_sub_f32_e32 v159, v151, v159
	;; [unrolled: 1-line block ×3, first 2 shown]
	v_add_f32_e32 v151, v165, v151
	v_add_f32_e32 v152, v166, v152
	v_add_f32_e32 v124, v124, v157
	v_add_f32_e32 v125, v125, v158
	v_mul_f32_e32 v117, 0x3f4a47b2, v117
	v_mul_f32_e32 v143, 0x3f4a47b2, v143
	;; [unrolled: 1-line block ×8, first 2 shown]
	v_fmamk_f32 v157, v157, 0xbf955555, v124
	v_fmamk_f32 v158, v158, 0xbf955555, v125
	v_fmamk_f32 v153, v153, 0x3d64c772, v117
	v_fmamk_f32 v154, v154, 0x3d64c772, v143
	v_fma_f32 v161, 0x3f3bfb3b, v163, -v161
	v_fma_f32 v162, 0x3f3bfb3b, v164, -v162
	;; [unrolled: 1-line block ×4, first 2 shown]
	v_fmamk_f32 v163, v159, 0xbeae86e6, v165
	v_fmamk_f32 v164, v160, 0xbeae86e6, v166
	v_fma_f32 v165, 0xbf5ff5aa, v155, -v165
	v_fma_f32 v166, 0xbf5ff5aa, v156, -v166
	;; [unrolled: 1-line block ×4, first 2 shown]
	v_add_f32_e32 v160, v161, v157
	v_add_f32_e32 v161, v162, v158
	;; [unrolled: 1-line block ×4, first 2 shown]
	v_fmac_f32_e32 v165, 0xbee1c552, v151
	v_fmac_f32_e32 v159, 0xbee1c552, v152
	;; [unrolled: 1-line block ×4, first 2 shown]
	v_add_f32_e32 v168, v153, v157
	v_add_f32_e32 v169, v154, v158
	v_fmac_f32_e32 v163, 0xbee1c552, v151
	v_fmac_f32_e32 v164, 0xbee1c552, v152
	v_add_f32_e32 v153, v159, v117
	v_sub_f32_e32 v154, v143, v167
	v_sub_f32_e32 v155, v160, v166
	v_add_f32_e32 v156, v165, v161
	v_add_f32_e32 v157, v166, v160
	v_sub_f32_e32 v158, v161, v165
	v_sub_f32_e32 v159, v117, v159
	v_add_f32_e32 v160, v167, v143
	v_add_f32_e32 v117, v179, v227
	;; [unrolled: 1-line block ×6, first 2 shown]
	v_sub_f32_e32 v152, v169, v163
	v_sub_f32_e32 v161, v168, v164
	v_add_f32_e32 v162, v163, v169
	v_sub_f32_e32 v163, v179, v227
	v_sub_f32_e32 v164, v180, v228
	;; [unrolled: 1-line block ×4, first 2 shown]
	v_add_f32_e32 v169, v220, v222
	v_add_f32_e32 v170, v221, v223
	v_sub_f32_e32 v171, v222, v220
	v_sub_f32_e32 v172, v223, v221
	v_add_f32_e32 v173, v165, v117
	v_add_f32_e32 v174, v166, v143
	v_sub_f32_e32 v175, v165, v117
	v_sub_f32_e32 v177, v166, v143
	;; [unrolled: 1-line block ×6, first 2 shown]
	v_add_f32_e32 v178, v171, v167
	v_add_f32_e32 v179, v172, v168
	v_sub_f32_e32 v180, v171, v167
	v_sub_f32_e32 v181, v172, v168
	;; [unrolled: 1-line block ×3, first 2 shown]
	v_add_f32_e32 v169, v169, v173
	v_add_f32_e32 v170, v170, v174
	v_sub_f32_e32 v168, v168, v164
	v_sub_f32_e32 v171, v163, v171
	;; [unrolled: 1-line block ×3, first 2 shown]
	v_add_f32_e32 v163, v178, v163
	v_add_f32_e32 v164, v179, v164
	;; [unrolled: 1-line block ×4, first 2 shown]
	v_mul_f32_e32 v117, 0x3f4a47b2, v117
	v_mul_f32_e32 v143, 0x3f4a47b2, v143
	;; [unrolled: 1-line block ×8, first 2 shown]
	v_fmamk_f32 v169, v169, 0xbf955555, v126
	v_fmamk_f32 v170, v170, 0xbf955555, v127
	;; [unrolled: 1-line block ×4, first 2 shown]
	v_fma_f32 v173, 0x3f3bfb3b, v175, -v173
	v_fma_f32 v174, 0x3f3bfb3b, v177, -v174
	;; [unrolled: 1-line block ×4, first 2 shown]
	v_fmamk_f32 v175, v171, 0xbeae86e6, v178
	v_fmamk_f32 v177, v172, 0xbeae86e6, v179
	v_fma_f32 v178, 0xbf5ff5aa, v167, -v178
	v_fma_f32 v179, 0xbf5ff5aa, v168, -v179
	;; [unrolled: 1-line block ×4, first 2 shown]
	v_add_f32_e32 v181, v165, v169
	v_add_f32_e32 v172, v173, v169
	;; [unrolled: 1-line block ×5, first 2 shown]
	v_fmac_f32_e32 v177, 0xbee1c552, v164
	v_fmac_f32_e32 v178, 0xbee1c552, v163
	;; [unrolled: 1-line block ×5, first 2 shown]
	v_add_f32_e32 v219, v166, v170
	v_fmac_f32_e32 v175, 0xbee1c552, v163
	v_add_f32_e32 v163, v177, v181
	v_add_f32_e32 v165, v171, v117
	v_sub_f32_e32 v166, v143, v180
	v_sub_f32_e32 v167, v172, v179
	v_add_f32_e32 v168, v178, v173
	v_add_f32_e32 v169, v179, v172
	v_sub_f32_e32 v170, v173, v178
	v_sub_f32_e32 v171, v117, v171
	v_add_f32_e32 v172, v180, v143
	v_sub_f32_e32 v173, v181, v177
	v_add_f32_e32 v117, v229, v237
	v_add_f32_e32 v143, v230, v116
	v_add_f32_e32 v177, v231, v236
	v_add_f32_e32 v178, v234, v239
	v_sub_f32_e32 v164, v219, v175
	v_add_f32_e32 v174, v175, v219
	v_sub_f32_e32 v175, v229, v237
	v_sub_f32_e32 v179, v231, v236
	;; [unrolled: 1-line block ×3, first 2 shown]
	v_add_f32_e32 v181, v232, v233
	v_add_f32_e32 v219, v235, v238
	v_sub_f32_e32 v220, v233, v232
	v_sub_f32_e32 v221, v238, v235
	v_add_f32_e32 v222, v177, v117
	v_add_f32_e32 v223, v178, v143
	v_sub_f32_e32 v116, v230, v116
	v_sub_f32_e32 v224, v177, v117
	;; [unrolled: 1-line block ×7, first 2 shown]
	v_add_f32_e32 v227, v220, v179
	v_add_f32_e32 v228, v221, v180
	v_sub_f32_e32 v229, v220, v179
	v_sub_f32_e32 v230, v221, v180
	;; [unrolled: 1-line block ×3, first 2 shown]
	v_add_f32_e32 v181, v181, v222
	v_add_f32_e32 v219, v219, v223
	v_sub_f32_e32 v220, v175, v220
	v_sub_f32_e32 v221, v116, v221
	;; [unrolled: 1-line block ×3, first 2 shown]
	v_add_f32_e32 v175, v227, v175
	v_add_f32_e32 v116, v228, v116
	;; [unrolled: 1-line block ×4, first 2 shown]
	v_mul_f32_e32 v117, 0x3f4a47b2, v117
	v_mul_f32_e32 v143, 0x3f4a47b2, v143
	;; [unrolled: 1-line block ×8, first 2 shown]
	v_fmamk_f32 v181, v181, 0xbf955555, v120
	v_fmamk_f32 v219, v219, 0xbf955555, v121
	;; [unrolled: 1-line block ×4, first 2 shown]
	v_fma_f32 v222, 0x3f3bfb3b, v224, -v222
	v_fma_f32 v223, 0x3f3bfb3b, v226, -v223
	;; [unrolled: 1-line block ×4, first 2 shown]
	v_fmamk_f32 v226, v220, 0xbeae86e6, v227
	v_fmamk_f32 v231, v221, 0xbeae86e6, v228
	v_fma_f32 v224, 0xbf5ff5aa, v179, -v227
	v_fma_f32 v227, 0xbf5ff5aa, v180, -v228
	;; [unrolled: 1-line block ×4, first 2 shown]
	v_add_f32_e32 v221, v222, v181
	v_add_f32_e32 v222, v223, v219
	;; [unrolled: 1-line block ×3, first 2 shown]
	v_fmac_f32_e32 v224, 0xbee1c552, v175
	v_fmac_f32_e32 v228, 0xbee1c552, v175
	v_add_f32_e32 v230, v177, v181
	v_add_f32_e32 v232, v178, v219
	v_fmac_f32_e32 v226, 0xbee1c552, v175
	v_add_f32_e32 v220, v224, v222
	v_sub_f32_e32 v180, v143, v228
	v_sub_f32_e32 v222, v222, v224
	v_add_f32_e32 v224, v228, v143
	buffer_load_dword v143, off, s[20:23], 0 offset:292 ; 4-byte Folded Reload
	v_fmac_f32_e32 v231, 0xbee1c552, v116
	v_add_f32_e32 v117, v117, v181
	v_fmac_f32_e32 v229, 0xbee1c552, v116
	v_fmac_f32_e32 v227, 0xbee1c552, v116
	v_sub_f32_e32 v178, v232, v226
	v_add_f32_e32 v177, v231, v230
	v_sub_f32_e32 v116, v230, v231
	v_add_f32_e32 v179, v229, v117
	;; [unrolled: 2-line block ×3, first 2 shown]
	v_sub_f32_e32 v223, v117, v229
	s_waitcnt vmcnt(0)
	ds_write2_b64 v143, v[0:1], v[2:3] offset1:4
	ds_write2_b64 v143, v[4:5], v[6:7] offset0:8 offset1:12
	ds_write2_b64 v143, v[8:9], v[10:11] offset0:16 offset1:20
	ds_write_b64 v143, v[122:123] offset:192
	buffer_load_dword v0, off, s[20:23], 0 offset:304 ; 4-byte Folded Reload
	v_add_f32_e32 v117, v226, v232
	v_add_nc_u32_e32 v4, 0x2c00, v255
	s_waitcnt vmcnt(0)
	ds_write2_b64 v0, v[130:131], v[133:134] offset1:4
	ds_write2_b64 v0, v[135:136], v[137:138] offset0:8 offset1:12
	ds_write2_b64 v0, v[139:140], v[141:142] offset0:16 offset1:20
	ds_write_b64 v0, v[149:150] offset:192
	buffer_load_dword v0, off, s[20:23], 0 offset:308 ; 4-byte Folded Reload
	s_waitcnt vmcnt(0)
	ds_write2_b64 v0, v[124:125], v[151:152] offset1:4
	ds_write2_b64 v0, v[153:154], v[155:156] offset0:8 offset1:12
	ds_write2_b64 v0, v[157:158], v[159:160] offset0:16 offset1:20
	ds_write_b64 v0, v[161:162] offset:192
	buffer_load_dword v0, off, s[20:23], 0 offset:300 ; 4-byte Folded Reload
	;; [unrolled: 6-line block ×3, first 2 shown]
	s_waitcnt vmcnt(0)
	ds_write2_b64 v0, v[120:121], v[177:178] offset1:4
	ds_write2_b64 v0, v[179:180], v[219:220] offset0:8 offset1:12
	ds_write2_b64 v0, v[221:222], v[223:224] offset0:16 offset1:20
	ds_write_b64 v0, v[116:117] offset:192
	s_waitcnt lgkmcnt(0)
	s_barrier
	buffer_gl0_inv
	ds_read2_b64 v[140:143], v255 offset1:56
	ds_read2_b64 v[0:3], v145 offset0:128 offset1:212
	ds_read2_b64 v[172:175], v129 offset0:12 offset1:68
	;; [unrolled: 1-line block ×16, first 2 shown]
	s_and_saveexec_b32 s1, s0
	s_cbranch_execz .LBB0_19
; %bb.18:
	ds_read_b64 v[116:117], v255 offset:7616
	ds_read_b64 v[118:119], v255 offset:15456
.LBB0_19:
	s_or_b32 exec_lo, exec_lo, s1
	s_waitcnt lgkmcnt(14)
	v_mul_f32_e32 v176, v218, v173
	v_mul_f32_e32 v177, v218, v172
	;; [unrolled: 1-line block ×4, first 2 shown]
	s_waitcnt lgkmcnt(10)
	v_mul_f32_e32 v180, v185, v167
	v_fmac_f32_e32 v176, v217, v172
	v_fma_f32 v172, v217, v173, -v177
	v_fmac_f32_e32 v178, v213, v174
	v_mul_f32_e32 v173, v212, v169
	v_mul_f32_e32 v174, v212, v168
	;; [unrolled: 1-line block ×3, first 2 shown]
	v_fma_f32 v175, v213, v175, -v179
	v_mul_f32_e32 v179, v210, v170
	v_fmac_f32_e32 v173, v211, v168
	v_fma_f32 v168, v211, v169, -v174
	v_mul_f32_e32 v169, v216, v3
	v_fmac_f32_e32 v177, v209, v170
	v_fma_f32 v170, v209, v171, -v179
	v_mul_f32_e32 v171, v216, v2
	v_mul_f32_e32 v174, v192, v165
	v_fmac_f32_e32 v169, v215, v2
	v_mul_f32_e32 v2, v185, v166
	v_mul_f32_e32 v179, v192, v164
	v_fma_f32 v3, v215, v3, -v171
	s_waitcnt lgkmcnt(8)
	v_mul_f32_e32 v171, v183, v163
	v_fmac_f32_e32 v174, v191, v164
	v_fma_f32 v167, v184, v167, -v2
	v_mul_f32_e32 v2, v183, v162
	s_waitcnt lgkmcnt(2)
	v_mul_f32_e32 v183, v204, v149
	v_fmac_f32_e32 v171, v182, v162
	v_fma_f32 v164, v191, v165, -v179
	v_fmac_f32_e32 v180, v184, v166
	v_fma_f32 v162, v182, v163, -v2
	v_mul_f32_e32 v2, v187, v156
	v_mul_f32_e32 v165, v190, v161
	v_mul_f32_e32 v166, v190, v160
	v_fmac_f32_e32 v183, v203, v148
	s_waitcnt lgkmcnt(0)
	v_mul_f32_e32 v190, v208, v147
	v_fma_f32 v181, v186, v157, -v2
	v_mul_f32_e32 v2, v196, v152
	v_fmac_f32_e32 v165, v189, v160
	v_fma_f32 v160, v189, v161, -v166
	v_mul_f32_e32 v189, v202, v145
	v_fma_f32 v184, v195, v153, -v2
	v_mul_f32_e32 v2, v204, v148
	v_mul_f32_e32 v148, v202, v144
	v_fmac_f32_e32 v189, v201, v144
	v_sub_f32_e32 v144, v142, v176
	s_barrier
	buffer_gl0_inv
	v_fma_f32 v192, v201, v145, -v148
	v_mul_f32_e32 v145, v208, v146
	v_mul_f32_e32 v161, v187, v157
	v_fma_f32 v187, v203, v149, -v2
	v_mul_f32_e32 v2, v200, v150
	v_sub_f32_e32 v3, v141, v3
	v_fma_f32 v176, v207, v147, -v145
	v_sub_f32_e32 v147, v137, v175
	v_sub_f32_e32 v145, v143, v172
	v_fma_f32 v191, v199, v151, -v2
	v_sub_f32_e32 v2, v140, v169
	v_sub_f32_e32 v175, v1, v176
	buffer_load_dword v176, off, s[20:23], 0 offset:312 ; 4-byte Folded Reload
	v_fma_f32 v141, v141, 2.0, -v3
	v_fma_f32 v142, v142, 2.0, -v144
	;; [unrolled: 1-line block ×4, first 2 shown]
	v_fmac_f32_e32 v190, v207, v146
	v_sub_f32_e32 v146, v136, v178
	v_fma_f32 v137, v137, 2.0, -v147
	v_sub_f32_e32 v148, v138, v173
	v_sub_f32_e32 v149, v139, v168
	v_fmac_f32_e32 v161, v186, v156
	v_fma_f32 v136, v136, 2.0, -v146
	v_mul_f32_e32 v186, v200, v151
	v_fma_f32 v138, v138, 2.0, -v148
	v_fma_f32 v139, v139, 2.0, -v149
	v_sub_f32_e32 v151, v129, v170
	v_mul_f32_e32 v179, v196, v153
	v_fmac_f32_e32 v186, v199, v150
	v_sub_f32_e32 v150, v128, v177
	v_sub_f32_e32 v153, v131, v164
	v_fma_f32 v129, v129, 2.0, -v151
	v_fmac_f32_e32 v179, v195, v152
	v_mul_f32_e32 v152, v206, v154
	v_fma_f32 v128, v128, 2.0, -v150
	v_fma_f32 v131, v131, 2.0, -v153
	v_mul_f32_e32 v182, v206, v155
	v_sub_f32_e32 v156, v134, v165
	v_fma_f32 v185, v205, v155, -v152
	v_sub_f32_e32 v152, v130, v174
	v_sub_f32_e32 v155, v133, v167
	v_fmac_f32_e32 v182, v205, v154
	v_sub_f32_e32 v154, v132, v180
	v_sub_f32_e32 v157, v135, v160
	v_fma_f32 v130, v130, 2.0, -v152
	v_fma_f32 v133, v133, 2.0, -v155
	;; [unrolled: 1-line block ×5, first 2 shown]
	v_mul_f32_e32 v163, v194, v159
	v_mul_f32_e32 v166, v194, v158
	v_sub_f32_e32 v160, v126, v161
	v_sub_f32_e32 v161, v127, v181
	;; [unrolled: 1-line block ×3, first 2 shown]
	v_fmac_f32_e32 v163, v193, v158
	v_fma_f32 v166, v193, v159, -v166
	v_sub_f32_e32 v158, v124, v171
	v_sub_f32_e32 v159, v125, v162
	v_fma_f32 v126, v126, 2.0, -v160
	v_fma_f32 v127, v127, 2.0, -v161
	v_sub_f32_e32 v162, v120, v163
	v_fma_f32 v124, v124, 2.0, -v158
	v_fma_f32 v125, v125, 2.0, -v159
	v_sub_f32_e32 v163, v121, v166
	v_sub_f32_e32 v165, v123, v184
	v_fma_f32 v120, v120, 2.0, -v162
	v_fma_f32 v122, v122, 2.0, -v164
	v_sub_f32_e32 v166, v8, v182
	v_fma_f32 v121, v121, 2.0, -v163
	v_fma_f32 v123, v123, 2.0, -v165
	v_sub_f32_e32 v167, v9, v185
	v_sub_f32_e32 v168, v10, v183
	v_fma_f32 v8, v8, 2.0, -v166
	v_sub_f32_e32 v169, v11, v187
	v_sub_f32_e32 v170, v4, v186
	v_fma_f32 v9, v9, 2.0, -v167
	v_fma_f32 v10, v10, 2.0, -v168
	v_sub_f32_e32 v171, v5, v191
	v_fma_f32 v11, v11, 2.0, -v169
	v_fma_f32 v4, v4, 2.0, -v170
	v_sub_f32_e32 v172, v6, v189
	v_sub_f32_e32 v173, v7, v192
	v_fma_f32 v5, v5, 2.0, -v171
	v_sub_f32_e32 v174, v0, v190
	v_fma_f32 v1, v1, 2.0, -v175
	v_fma_f32 v6, v6, 2.0, -v172
	;; [unrolled: 1-line block ×4, first 2 shown]
	s_waitcnt vmcnt(0)
	ds_write2_b64 v176, v[140:141], v[2:3] offset1:28
	buffer_load_dword v2, off, s[20:23], 0 offset:316 ; 4-byte Folded Reload
	s_waitcnt vmcnt(0)
	ds_write2_b64 v2, v[142:143], v[144:145] offset1:28
	buffer_load_dword v2, off, s[20:23], 0 offset:320 ; 4-byte Folded Reload
	;; [unrolled: 3-line block ×16, first 2 shown]
	s_waitcnt vmcnt(0)
	ds_write2_b64 v2, v[0:1], v[174:175] offset1:28
	s_and_saveexec_b32 s1, s0
	s_cbranch_execz .LBB0_21
; %bb.20:
	v_mul_f32_e32 v0, v198, v118
	v_mul_f32_e32 v2, v198, v119
	v_mov_b32_e32 v3, 3
	v_fma_f32 v0, v197, v119, -v0
	v_fmac_f32_e32 v2, v197, v118
	v_sub_f32_e32 v1, v117, v0
	v_sub_f32_e32 v0, v116, v2
	buffer_load_dword v2, off, s[20:23], 0 offset:392 ; 4-byte Folded Reload
	s_waitcnt vmcnt(0)
	v_lshlrev_b32_sdwa v4, v3, v2 dst_sel:DWORD dst_unused:UNUSED_PAD src0_sel:DWORD src1_sel:WORD_0
	v_fma_f32 v3, v117, 2.0, -v1
	v_fma_f32 v2, v116, 2.0, -v0
	v_add_nc_u32_e32 v4, 0x3800, v4
	ds_write2_b64 v4, v[2:3], v[0:1] offset0:112 offset1:140
.LBB0_21:
	s_or_b32 exec_lo, exec_lo, s1
	v_add_nc_u32_e32 v122, 0x400, v255
	s_waitcnt lgkmcnt(0)
	s_barrier
	buffer_gl0_inv
	ds_read2_b64 v[125:128], v255 offset1:56
	ds_read2_b64 v[0:3], v122 offset0:96 offset1:152
	v_add_nc_u32_e32 v123, 0x1000, v255
	v_add_nc_u32_e32 v118, 0x1800, v255
	;; [unrolled: 1-line block ×5, first 2 shown]
	ds_read2_b64 v[129:132], v123 offset0:48 offset1:104
	v_add_nc_u32_e32 v119, 0x800, v255
	ds_read2_b64 v[4:7], v255 offset0:112 offset1:168
	ds_read2_b64 v[133:136], v118 offset0:16 offset1:72
	;; [unrolled: 1-line block ×9, first 2 shown]
	v_add_nc_u32_e32 v8, 0x2400, v255
	v_add_nc_u32_e32 v116, 0x3800, v255
	ds_read2_b64 v[165:168], v8 offset0:80 offset1:136
	ds_read2_b64 v[169:172], v116 offset1:56
	v_add_nc_u32_e32 v124, 0x1c00, v255
	ds_read2_b64 v[173:176], v119 offset0:192 offset1:248
	s_mov_b32 s4, 0xec259dc8
	s_mov_b32 s5, 0x3f40b7e6
	s_waitcnt lgkmcnt(13)
	v_mul_f32_e32 v177, v21, v3
	v_mul_f32_e32 v9, v21, v2
	s_mul_hi_u32 s1, s8, 0x1ea
	v_fmac_f32_e32 v177, v20, v2
	s_waitcnt lgkmcnt(12)
	v_mul_f32_e32 v2, v23, v129
	v_mul_f32_e32 v178, v23, v130
	v_fma_f32 v179, v20, v3, -v9
	v_mul_f32_e32 v180, v23, v132
	v_mul_f32_e32 v3, v23, v131
	v_fma_f32 v23, v22, v130, -v2
	s_waitcnt lgkmcnt(6)
	v_mul_f32_e32 v2, v21, v149
	v_fmac_f32_e32 v178, v22, v129
	v_fmac_f32_e32 v180, v22, v131
	v_fma_f32 v22, v22, v132, -v3
	v_mul_f32_e32 v130, v21, v150
	v_mul_f32_e32 v3, v17, v135
	v_fma_f32 v131, v20, v150, -v2
	v_mul_f32_e32 v2, v19, v137
	v_mul_f32_e32 v21, v19, v138
	v_fmac_f32_e32 v130, v20, v149
	v_fma_f32 v20, v16, v136, -v3
	v_mul_f32_e32 v132, v19, v140
	v_mul_f32_e32 v3, v19, v139
	v_fma_f32 v19, v18, v138, -v2
	s_waitcnt lgkmcnt(5)
	v_mul_f32_e32 v2, v17, v153
	v_mul_f32_e32 v129, v17, v136
	v_fmac_f32_e32 v21, v18, v137
	v_fma_f32 v136, v18, v140, -v3
	v_mul_f32_e32 v3, v15, v145
	v_fma_f32 v138, v16, v154, -v2
	v_mul_f32_e32 v2, v13, v143
	v_fmac_f32_e32 v129, v16, v135
	v_mul_f32_e32 v135, v13, v144
	v_fmac_f32_e32 v132, v18, v139
	v_mul_f32_e32 v137, v17, v154
	v_mul_f32_e32 v17, v15, v146
	;; [unrolled: 1-line block ×4, first 2 shown]
	v_fma_f32 v18, v14, v146, -v3
	s_waitcnt lgkmcnt(4)
	v_mul_f32_e32 v140, v13, v158
	v_mul_f32_e32 v3, v13, v157
	v_fma_f32 v144, v12, v144, -v2
	v_mul_f32_e32 v2, v25, v151
	v_fmac_f32_e32 v135, v12, v143
	v_fmac_f32_e32 v17, v14, v145
	;; [unrolled: 1-line block ×3, first 2 shown]
	v_fma_f32 v143, v14, v148, -v9
	v_mul_f32_e32 v145, v25, v152
	v_fmac_f32_e32 v140, v12, v157
	v_fma_f32 v25, v12, v158, -v3
	v_fma_f32 v147, v24, v152, -v2
	s_waitcnt lgkmcnt(3)
	v_mul_f32_e32 v2, v27, v161
	ds_read2_b64 v[9:12], v124 offset0:112 offset1:168
	v_fmac_f32_e32 v137, v16, v153
	v_mul_f32_e32 v3, v33, v155
	ds_read2_b64 v[13:16], v120 offset0:32 offset1:88
	v_fma_f32 v149, v26, v162, -v2
	s_waitcnt lgkmcnt(4)
	v_mul_f32_e32 v2, v35, v165
	v_fmac_f32_e32 v145, v24, v151
	v_fma_f32 v151, v32, v156, -v3
	v_mul_f32_e32 v24, v29, v159
	v_mul_f32_e32 v146, v27, v162
	v_fma_f32 v153, v34, v166, -v2
	ds_read_b64 v[2:3], v255 offset:15232
	v_mul_f32_e32 v148, v33, v156
	v_fma_f32 v154, v28, v160, -v24
	s_waitcnt lgkmcnt(4)
	v_mul_f32_e32 v24, v31, v169
	v_fmac_f32_e32 v146, v26, v161
	s_waitcnt lgkmcnt(3)
	v_mul_f32_e32 v26, v57, v173
	v_fmac_f32_e32 v148, v32, v155
	v_mul_f32_e32 v155, v57, v174
	v_mul_f32_e32 v57, v59, v164
	v_mul_f32_e32 v27, v59, v163
	v_fma_f32 v59, v30, v170, -v24
	s_waitcnt lgkmcnt(2)
	v_mul_f32_e32 v156, v53, v10
	v_mul_f32_e32 v24, v53, v9
	;; [unrolled: 1-line block ×4, first 2 shown]
	v_fmac_f32_e32 v155, v56, v173
	v_fma_f32 v56, v56, v174, -v26
	v_mul_f32_e32 v53, v55, v168
	v_mul_f32_e32 v26, v55, v167
	s_waitcnt lgkmcnt(1)
	v_mul_f32_e32 v55, v49, v14
	v_fmac_f32_e32 v156, v52, v9
	v_fma_f32 v52, v52, v10, -v24
	v_mul_f32_e32 v9, v49, v13
	v_mul_f32_e32 v49, v51, v172
	;; [unrolled: 1-line block ×4, first 2 shown]
	v_fmac_f32_e32 v35, v28, v159
	v_fmac_f32_e32 v55, v48, v13
	v_fma_f32 v48, v48, v14, -v9
	v_fmac_f32_e32 v49, v50, v171
	v_fma_f32 v50, v50, v172, -v10
	v_mul_f32_e32 v159, v47, v134
	v_mul_f32_e32 v9, v47, v133
	;; [unrolled: 1-line block ×4, first 2 shown]
	v_fmac_f32_e32 v160, v40, v11
	s_waitcnt lgkmcnt(0)
	v_mul_f32_e32 v162, v39, v3
	v_mul_f32_e32 v11, v39, v2
	v_fmac_f32_e32 v57, v58, v163
	v_fma_f32 v58, v58, v164, -v27
	v_mul_f32_e32 v13, v45, v175
	v_fmac_f32_e32 v159, v46, v133
	v_fma_f32 v133, v46, v134, -v9
	v_fma_f32 v134, v40, v12, -v10
	v_fmac_f32_e32 v161, v42, v141
	v_mul_f32_e32 v9, v43, v141
	v_mul_f32_e32 v141, v37, v16
	;; [unrolled: 1-line block ×3, first 2 shown]
	v_fmac_f32_e32 v162, v38, v2
	v_fma_f32 v164, v38, v3, -v11
	v_add_f32_e32 v2, v177, v17
	v_add_f32_e32 v3, v179, v18
	v_add_f32_e32 v11, v178, v135
	v_add_f32_e32 v12, v23, v144
	v_fma_f32 v158, v44, v176, -v13
	v_fma_f32 v142, v42, v142, -v9
	v_fmac_f32_e32 v141, v36, v15
	v_fma_f32 v163, v36, v16, -v10
	v_sub_f32_e32 v9, v177, v17
	v_sub_f32_e32 v10, v179, v18
	;; [unrolled: 1-line block ×4, first 2 shown]
	v_add_f32_e32 v15, v129, v21
	v_add_f32_e32 v16, v20, v19
	v_sub_f32_e32 v17, v21, v129
	v_sub_f32_e32 v18, v19, v20
	v_add_f32_e32 v19, v11, v2
	v_add_f32_e32 v20, v12, v3
	v_mul_f32_e32 v152, v31, v170
	v_fmac_f32_e32 v53, v54, v167
	v_fma_f32 v54, v54, v168, -v26
	v_sub_f32_e32 v21, v11, v2
	v_sub_f32_e32 v23, v12, v3
	;; [unrolled: 1-line block ×6, first 2 shown]
	v_add_f32_e32 v2, v17, v13
	v_add_f32_e32 v3, v18, v14
	v_sub_f32_e32 v27, v17, v13
	v_sub_f32_e32 v28, v18, v14
	;; [unrolled: 1-line block ×3, first 2 shown]
	v_add_f32_e32 v15, v15, v19
	v_add_f32_e32 v16, v16, v20
	v_sub_f32_e32 v14, v14, v10
	v_fmac_f32_e32 v152, v30, v169
	v_sub_f32_e32 v17, v9, v17
	v_sub_f32_e32 v18, v10, v18
	v_add_f32_e32 v9, v2, v9
	v_add_f32_e32 v10, v3, v10
	;; [unrolled: 1-line block ×4, first 2 shown]
	v_mul_f32_e32 v19, 0x3f4a47b2, v24
	v_mul_f32_e32 v20, 0x3f4a47b2, v26
	;; [unrolled: 1-line block ×8, first 2 shown]
	v_fmamk_f32 v15, v15, 0xbf955555, v2
	v_fmamk_f32 v16, v16, 0xbf955555, v3
	;; [unrolled: 1-line block ×4, first 2 shown]
	v_fma_f32 v24, 0x3f3bfb3b, v21, -v24
	v_fma_f32 v26, 0x3f3bfb3b, v23, -v26
	;; [unrolled: 1-line block ×4, first 2 shown]
	v_fmamk_f32 v21, v17, 0xbeae86e6, v27
	v_fmamk_f32 v23, v18, 0xbeae86e6, v28
	v_fma_f32 v27, 0xbf5ff5aa, v13, -v27
	v_fma_f32 v28, 0xbf5ff5aa, v14, -v28
	;; [unrolled: 1-line block ×4, first 2 shown]
	v_add_f32_e32 v30, v11, v15
	v_add_f32_e32 v31, v12, v16
	;; [unrolled: 1-line block ×6, first 2 shown]
	v_fmac_f32_e32 v21, 0xbee1c552, v9
	v_fmac_f32_e32 v23, 0xbee1c552, v10
	;; [unrolled: 1-line block ×6, first 2 shown]
	v_add_f32_e32 v9, v23, v30
	v_sub_f32_e32 v10, v31, v21
	v_add_f32_e32 v11, v17, v19
	v_sub_f32_e32 v12, v20, v29
	v_sub_f32_e32 v13, v18, v28
	v_add_f32_e32 v14, v27, v24
	v_add_f32_e32 v15, v28, v18
	v_sub_f32_e32 v16, v24, v27
	v_sub_f32_e32 v17, v19, v17
	v_add_f32_e32 v18, v29, v20
	v_sub_f32_e32 v19, v30, v23
	v_add_f32_e32 v20, v21, v31
	v_add_f32_e32 v21, v130, v139
	;; [unrolled: 1-line block ×5, first 2 shown]
	v_fmac_f32_e32 v150, v34, v165
	v_sub_f32_e32 v29, v180, v140
	v_sub_f32_e32 v22, v22, v25
	v_add_f32_e32 v25, v137, v132
	v_add_f32_e32 v30, v138, v136
	v_sub_f32_e32 v31, v132, v137
	v_add_f32_e32 v33, v27, v21
	v_add_f32_e32 v34, v28, v23
	v_sub_f32_e32 v24, v130, v139
	v_sub_f32_e32 v26, v131, v143
	v_sub_f32_e32 v32, v136, v138
	v_sub_f32_e32 v36, v27, v21
	v_sub_f32_e32 v37, v28, v23
	v_sub_f32_e32 v38, v21, v25
	v_sub_f32_e32 v23, v23, v30
	v_sub_f32_e32 v27, v25, v27
	v_sub_f32_e32 v28, v30, v28
	v_add_f32_e32 v21, v31, v29
	v_add_f32_e32 v25, v25, v33
	;; [unrolled: 1-line block ×4, first 2 shown]
	v_sub_f32_e32 v40, v31, v29
	v_sub_f32_e32 v41, v32, v22
	;; [unrolled: 1-line block ×5, first 2 shown]
	v_add_f32_e32 v24, v21, v24
	v_add_f32_e32 v21, v127, v25
	;; [unrolled: 1-line block ×3, first 2 shown]
	s_barrier
	buffer_gl0_inv
	ds_write2_b64 v255, v[2:3], v[9:10] offset1:56
	ds_write2_b64 v255, v[11:12], v[13:14] offset0:112 offset1:168
	ds_write2_b64 v122, v[15:16], v[17:18] offset0:96 offset1:152
	ds_write2_b64 v119, v[19:20], v[21:22] offset0:80 offset1:136
	buffer_load_dword v9, off, s[20:23], 0 offset:380 ; 4-byte Folded Reload
	v_sub_f32_e32 v32, v26, v32
	v_add_f32_e32 v26, v39, v26
	v_mul_f32_e32 v34, 0x3f4a47b2, v38
	v_mul_f32_e32 v23, 0x3f4a47b2, v23
	;; [unrolled: 1-line block ×8, first 2 shown]
	v_fmamk_f32 v25, v25, 0xbf955555, v21
	v_fmamk_f32 v30, v30, 0xbf955555, v22
	v_fmamk_f32 v27, v27, 0x3d64c772, v34
	v_fmamk_f32 v28, v28, 0x3d64c772, v23
	v_fma_f32 v38, 0x3f3bfb3b, v36, -v38
	v_fma_f32 v39, 0x3f3bfb3b, v37, -v39
	;; [unrolled: 1-line block ×4, first 2 shown]
	v_fmamk_f32 v36, v31, 0xbeae86e6, v40
	v_fmamk_f32 v37, v32, 0xbeae86e6, v41
	v_fma_f32 v40, 0xbf5ff5aa, v29, -v40
	v_fma_f32 v29, 0xbf5ff5aa, v33, -v41
	;; [unrolled: 1-line block ×4, first 2 shown]
	v_add_f32_e32 v41, v27, v25
	v_add_f32_e32 v42, v28, v30
	;; [unrolled: 1-line block ×6, first 2 shown]
	v_fmac_f32_e32 v36, 0xbee1c552, v24
	v_fmac_f32_e32 v37, 0xbee1c552, v26
	;; [unrolled: 1-line block ×6, first 2 shown]
	v_mul_f32_e32 v157, v45, v176
	v_add_f32_e32 v23, v37, v41
	v_sub_f32_e32 v24, v42, v36
	v_add_f32_e32 v25, v31, v34
	v_sub_f32_e32 v26, v39, v33
	v_sub_f32_e32 v27, v32, v29
	v_add_f32_e32 v28, v40, v38
	v_add_f32_e32 v29, v29, v32
	v_sub_f32_e32 v30, v38, v40
	v_sub_f32_e32 v31, v34, v31
	v_add_f32_e32 v32, v33, v39
	v_sub_f32_e32 v33, v41, v37
	v_add_f32_e32 v34, v36, v42
	v_add_f32_e32 v36, v145, v152
	;; [unrolled: 1-line block ×5, first 2 shown]
	v_fmac_f32_e32 v157, v44, v175
	v_sub_f32_e32 v35, v146, v35
	v_sub_f32_e32 v42, v149, v154
	v_add_f32_e32 v43, v148, v150
	v_add_f32_e32 v44, v151, v153
	v_sub_f32_e32 v45, v150, v148
	v_sub_f32_e32 v46, v153, v151
	v_add_f32_e32 v47, v40, v36
	v_add_f32_e32 v51, v41, v37
	v_sub_f32_e32 v38, v145, v152
	v_sub_f32_e32 v39, v147, v59
	;; [unrolled: 1-line block ×8, first 2 shown]
	v_add_f32_e32 v126, v45, v35
	v_add_f32_e32 v127, v46, v42
	v_sub_f32_e32 v128, v45, v35
	v_sub_f32_e32 v129, v46, v42
	v_add_f32_e32 v43, v43, v47
	v_add_f32_e32 v44, v44, v51
	v_sub_f32_e32 v45, v38, v45
	v_sub_f32_e32 v46, v39, v46
	;; [unrolled: 1-line block ×4, first 2 shown]
	v_add_f32_e32 v38, v126, v38
	v_add_f32_e32 v39, v127, v39
	;; [unrolled: 1-line block ×4, first 2 shown]
	v_mul_f32_e32 v36, 0x3f4a47b2, v36
	v_mul_f32_e32 v37, 0x3f4a47b2, v37
	;; [unrolled: 1-line block ×7, first 2 shown]
	v_fmamk_f32 v43, v43, 0xbf955555, v4
	v_fmamk_f32 v44, v44, 0xbf955555, v5
	;; [unrolled: 1-line block ×4, first 2 shown]
	v_fma_f32 v47, 0x3f3bfb3b, v59, -v47
	v_fma_f32 v51, 0x3f3bfb3b, v125, -v51
	;; [unrolled: 1-line block ×4, first 2 shown]
	v_fmamk_f32 v59, v45, 0xbeae86e6, v126
	v_fmamk_f32 v125, v46, 0xbeae86e6, v127
	v_mul_f32_e32 v129, 0xbf5ff5aa, v42
	v_fma_f32 v42, 0xbf5ff5aa, v42, -v127
	v_fma_f32 v45, 0x3eae86e6, v45, -v128
	v_add_f32_e32 v127, v40, v43
	v_add_f32_e32 v128, v41, v44
	v_fmac_f32_e32 v59, 0xbee1c552, v38
	v_fmac_f32_e32 v125, 0xbee1c552, v39
	v_fma_f32 v126, 0xbf5ff5aa, v35, -v126
	v_add_f32_e32 v41, v47, v43
	v_add_f32_e32 v43, v36, v43
	v_sub_f32_e32 v36, v128, v59
	v_add_f32_e32 v35, v125, v127
	ds_write2_b64 v119, v[23:24], v[25:26] offset0:192 offset1:248
	ds_write2_b64 v123, v[27:28], v[29:30] offset0:48 offset1:104
	;; [unrolled: 1-line block ×3, first 2 shown]
	v_fma_f32 v46, 0x3eae86e6, v46, -v129
	v_add_f32_e32 v47, v51, v44
	v_fmac_f32_e32 v126, 0xbee1c552, v38
	v_fmac_f32_e32 v42, 0xbee1c552, v39
	v_add_f32_e32 v44, v37, v44
	v_fmac_f32_e32 v46, 0xbee1c552, v39
	v_fmac_f32_e32 v45, 0xbee1c552, v38
	v_add_f32_e32 v40, v126, v47
	v_sub_f32_e32 v39, v41, v42
	v_add_f32_e32 v41, v42, v41
	v_add_f32_e32 v37, v46, v43
	v_sub_f32_e32 v42, v47, v126
	v_sub_f32_e32 v43, v43, v46
	v_add_f32_e32 v46, v59, v128
	v_add_f32_e32 v47, v155, v49
	;; [unrolled: 1-line block ×3, first 2 shown]
	v_sub_f32_e32 v50, v56, v50
	v_add_f32_e32 v56, v57, v55
	v_add_f32_e32 v59, v58, v48
	v_sub_f32_e32 v38, v44, v45
	v_add_f32_e32 v44, v45, v44
	v_sub_f32_e32 v45, v127, v125
	v_sub_f32_e32 v55, v57, v55
	;; [unrolled: 1-line block ×3, first 2 shown]
	v_add_f32_e32 v57, v156, v53
	v_add_f32_e32 v58, v52, v54
	v_sub_f32_e32 v53, v53, v156
	v_sub_f32_e32 v52, v54, v52
	v_add_f32_e32 v54, v56, v47
	v_add_f32_e32 v125, v59, v51
	v_sub_f32_e32 v49, v155, v49
	v_sub_f32_e32 v126, v56, v47
	;; [unrolled: 1-line block ×7, first 2 shown]
	v_add_f32_e32 v128, v53, v55
	v_add_f32_e32 v129, v52, v48
	v_sub_f32_e32 v130, v53, v55
	v_sub_f32_e32 v131, v52, v48
	v_add_f32_e32 v54, v57, v54
	v_add_f32_e32 v57, v58, v125
	v_sub_f32_e32 v53, v49, v53
	v_sub_f32_e32 v52, v50, v52
	;; [unrolled: 1-line block ×4, first 2 shown]
	v_add_f32_e32 v49, v128, v49
	v_add_f32_e32 v50, v129, v50
	;; [unrolled: 1-line block ×4, first 2 shown]
	v_mul_f32_e32 v47, 0x3f4a47b2, v47
	v_mul_f32_e32 v51, 0x3f4a47b2, v51
	v_mul_f32_e32 v58, 0x3d64c772, v56
	v_mul_f32_e32 v125, 0x3d64c772, v59
	v_mul_f32_e32 v128, 0x3f08b237, v130
	v_mul_f32_e32 v129, 0x3f08b237, v131
	v_mul_f32_e32 v130, 0xbf5ff5aa, v55
	v_mul_f32_e32 v131, 0xbf5ff5aa, v48
	v_fmamk_f32 v54, v54, 0xbf955555, v6
	v_fmamk_f32 v57, v57, 0xbf955555, v7
	;; [unrolled: 1-line block ×4, first 2 shown]
	v_fma_f32 v58, 0x3f3bfb3b, v126, -v58
	v_fma_f32 v125, 0x3f3bfb3b, v127, -v125
	;; [unrolled: 1-line block ×4, first 2 shown]
	v_fmamk_f32 v126, v53, 0xbeae86e6, v128
	v_fmamk_f32 v127, v52, 0xbeae86e6, v129
	v_fma_f32 v55, 0xbf5ff5aa, v55, -v128
	v_fma_f32 v128, 0xbf5ff5aa, v48, -v129
	;; [unrolled: 1-line block ×4, first 2 shown]
	v_add_f32_e32 v131, v56, v54
	v_add_f32_e32 v59, v59, v57
	v_fmac_f32_e32 v126, 0xbee1c552, v49
	v_fmac_f32_e32 v127, 0xbee1c552, v50
	v_add_f32_e32 v53, v58, v54
	v_add_f32_e32 v58, v47, v54
	;; [unrolled: 1-line block ×3, first 2 shown]
	v_sub_f32_e32 v48, v59, v126
	v_add_f32_e32 v47, v127, v131
	v_add_f32_e32 v57, v51, v57
	v_fmac_f32_e32 v55, 0xbee1c552, v49
	v_fmac_f32_e32 v130, 0xbee1c552, v50
	;; [unrolled: 1-line block ×4, first 2 shown]
	v_add_f32_e32 v125, v158, v164
	v_add_f32_e32 v52, v55, v56
	;; [unrolled: 1-line block ×3, first 2 shown]
	v_sub_f32_e32 v50, v57, v129
	v_sub_f32_e32 v51, v53, v128
	v_add_f32_e32 v53, v128, v53
	v_sub_f32_e32 v54, v56, v55
	v_sub_f32_e32 v55, v58, v130
	v_add_f32_e32 v56, v129, v57
	v_add_f32_e32 v58, v126, v59
	;; [unrolled: 1-line block ×5, first 2 shown]
	v_sub_f32_e32 v57, v131, v127
	v_sub_f32_e32 v130, v159, v141
	;; [unrolled: 1-line block ×3, first 2 shown]
	v_add_f32_e32 v132, v160, v161
	v_add_f32_e32 v133, v134, v142
	v_sub_f32_e32 v135, v161, v160
	v_sub_f32_e32 v134, v142, v134
	v_add_f32_e32 v136, v128, v59
	v_add_f32_e32 v137, v129, v125
	v_sub_f32_e32 v126, v157, v162
	v_sub_f32_e32 v127, v158, v164
	;; [unrolled: 1-line block ×8, first 2 shown]
	v_add_f32_e32 v140, v135, v130
	v_add_f32_e32 v141, v134, v131
	v_sub_f32_e32 v142, v135, v130
	v_sub_f32_e32 v143, v134, v131
	v_add_f32_e32 v132, v132, v136
	v_add_f32_e32 v133, v133, v137
	v_sub_f32_e32 v130, v130, v126
	v_sub_f32_e32 v131, v131, v127
	;; [unrolled: 1-line block ×4, first 2 shown]
	v_add_f32_e32 v126, v140, v126
	v_add_f32_e32 v127, v141, v127
	;; [unrolled: 1-line block ×4, first 2 shown]
	v_mul_f32_e32 v59, 0x3f4a47b2, v59
	v_mul_f32_e32 v125, 0x3f4a47b2, v125
	;; [unrolled: 1-line block ×8, first 2 shown]
	v_fmamk_f32 v132, v132, 0xbf955555, v0
	v_fmamk_f32 v133, v133, 0xbf955555, v1
	;; [unrolled: 1-line block ×4, first 2 shown]
	v_fma_f32 v136, 0x3f3bfb3b, v138, -v136
	v_fma_f32 v137, 0x3f3bfb3b, v139, -v137
	;; [unrolled: 1-line block ×4, first 2 shown]
	v_fmamk_f32 v138, v135, 0xbeae86e6, v140
	v_fmamk_f32 v139, v134, 0xbeae86e6, v141
	v_fma_f32 v140, 0xbf5ff5aa, v130, -v140
	v_fma_f32 v131, 0xbf5ff5aa, v131, -v141
	;; [unrolled: 1-line block ×4, first 2 shown]
	v_add_f32_e32 v141, v128, v132
	v_add_f32_e32 v142, v129, v133
	v_fmac_f32_e32 v138, 0xbee1c552, v126
	v_fmac_f32_e32 v139, 0xbee1c552, v127
	v_add_f32_e32 v136, v136, v132
	v_add_f32_e32 v137, v137, v133
	;; [unrolled: 1-line block ×4, first 2 shown]
	v_fmac_f32_e32 v140, 0xbee1c552, v126
	v_fmac_f32_e32 v134, 0xbee1c552, v127
	;; [unrolled: 1-line block ×4, first 2 shown]
	v_add_f32_e32 v125, v139, v141
	v_sub_f32_e32 v126, v142, v138
	v_add_f32_e32 v127, v134, v59
	v_sub_f32_e32 v128, v143, v135
	v_sub_f32_e32 v129, v136, v131
	v_add_f32_e32 v130, v140, v137
	v_add_f32_e32 v131, v131, v136
	v_sub_f32_e32 v132, v137, v140
	v_sub_f32_e32 v133, v59, v134
	v_add_f32_e32 v134, v135, v143
	v_sub_f32_e32 v135, v141, v139
	v_add_f32_e32 v136, v138, v142
	s_waitcnt vmcnt(0)
	v_add_nc_u32_e32 v2, 0x1800, v9
	v_add_nc_u32_e32 v3, 0x1c00, v9
	ds_write2_b64 v2, v[4:5], v[35:36] offset0:16 offset1:72
	buffer_load_dword v5, off, s[20:23], 0 offset:384 ; 4-byte Folded Reload
	ds_write2_b64 v2, v[37:38], v[39:40] offset0:128 offset1:184
	s_waitcnt vmcnt(0)
	v_add_nc_u32_e32 v4, 0x2000, v5
	ds_write2_b64 v3, v[41:42], v[43:44] offset0:112 offset1:168
	ds_write_b64 v9, v[45:46] offset:8960
	ds_write2_b64 v4, v[6:7], v[47:48] offset0:152 offset1:208
	buffer_load_dword v6, off, s[20:23], 0 offset:388 ; 4-byte Folded Reload
	v_add_nc_u32_e32 v2, 0x2800, v5
	ds_write2_b64 v2, v[49:50], v[51:52] offset0:8 offset1:64
	s_waitcnt vmcnt(0)
	v_add_nc_u32_e32 v3, 0x3000, v6
	v_add_nc_u32_e32 v4, 0x3800, v6
	ds_write2_b64 v2, v[53:54], v[55:56] offset0:120 offset1:176
	ds_write_b64 v5, v[57:58] offset:12096
	ds_write2_b64 v3, v[0:1], v[125:126] offset0:32 offset1:88
	ds_write2_b64 v3, v[127:128], v[129:130] offset0:144 offset1:200
	ds_write2_b64 v4, v[131:132], v[133:134] offset1:56
	ds_write_b64 v6, v[135:136] offset:15232
	s_waitcnt lgkmcnt(0)
	s_barrier
	buffer_gl0_inv
	ds_read2_b64 v[0:3], v119 offset0:80 offset1:136
	ds_read2_b64 v[12:15], v255 offset1:56
	ds_read2_b64 v[16:19], v118 offset0:16 offset1:72
	ds_read2_b64 v[20:23], v121 offset0:96 offset1:152
	;; [unrolled: 1-line block ×12, first 2 shown]
	ds_read2_b64 v[129:132], v116 offset1:56
	ds_read2_b64 v[133:136], v123 offset0:160 offset1:216
	ds_read2_b64 v[137:140], v117 offset0:176 offset1:232
	ds_read_b64 v[141:142], v255 offset:15232
	s_waitcnt lgkmcnt(17)
	v_mul_f32_e32 v143, v89, v3
	v_mul_f32_e32 v48, v89, v2
	s_waitcnt lgkmcnt(15)
	v_mul_f32_e32 v89, v91, v17
	v_fmac_f32_e32 v143, v88, v2
	v_fma_f32 v88, v88, v3, -v48
	v_mul_f32_e32 v2, v91, v16
	s_waitcnt lgkmcnt(14)
	v_mul_f32_e32 v91, v81, v23
	v_mul_f32_e32 v3, v81, v22
	s_waitcnt lgkmcnt(13)
	v_mul_f32_e32 v81, v83, v25
	v_fmac_f32_e32 v89, v90, v16
	v_fma_f32 v90, v90, v17, -v2
	v_fmac_f32_e32 v91, v80, v22
	v_fma_f32 v22, v80, v23, -v3
	v_mul_f32_e32 v2, v83, v24
	s_waitcnt lgkmcnt(12)
	v_mul_f32_e32 v3, v61, v28
	v_fmac_f32_e32 v81, v82, v24
	v_mul_f32_e32 v80, v61, v29
	v_mul_f32_e32 v83, v63, v19
	v_fma_f32 v23, v82, v25, -v2
	v_fma_f32 v82, v60, v29, -v3
	s_waitcnt lgkmcnt(11)
	v_mul_f32_e32 v29, v73, v33
	v_mul_f32_e32 v2, v73, v32
	;; [unrolled: 1-line block ×5, first 2 shown]
	v_fmac_f32_e32 v29, v72, v32
	v_fma_f32 v32, v72, v33, -v2
	v_fma_f32 v33, v74, v27, -v3
	v_mul_f32_e32 v2, v65, v30
	s_waitcnt lgkmcnt(9)
	v_mul_f32_e32 v65, v67, v37
	v_mul_f32_e32 v3, v67, v36
	;; [unrolled: 1-line block ×3, first 2 shown]
	v_fmac_f32_e32 v73, v64, v30
	v_fma_f32 v64, v64, v31, -v2
	v_fmac_f32_e32 v65, v66, v36
	v_fma_f32 v66, v66, v37, -v3
	s_waitcnt lgkmcnt(8)
	v_mul_f32_e32 v2, v79, v40
	s_waitcnt lgkmcnt(7)
	v_mul_f32_e32 v3, v69, v44
	v_fmac_f32_e32 v83, v62, v18
	v_fma_f32 v144, v62, v19, -v16
	v_fmac_f32_e32 v25, v74, v26
	v_mul_f32_e32 v67, v77, v35
	v_mul_f32_e32 v16, v77, v34
	;; [unrolled: 1-line block ×3, first 2 shown]
	v_fma_f32 v69, v78, v41, -v2
	v_fma_f32 v62, v68, v45, -v3
	v_mul_f32_e32 v2, v71, v38
	s_waitcnt lgkmcnt(6)
	v_mul_f32_e32 v3, v85, v49
	v_fmac_f32_e32 v67, v76, v34
	v_fma_f32 v72, v76, v35, -v16
	v_mul_f32_e32 v35, v79, v41
	v_fma_f32 v76, v70, v39, -v2
	v_fma_f32 v77, v84, v50, -v3
	v_mul_f32_e32 v2, v97, v46
	s_waitcnt lgkmcnt(4)
	v_mul_f32_e32 v3, v99, v125
	v_mul_f32_e32 v16, v87, v42
	v_fmac_f32_e32 v80, v60, v28
	v_mul_f32_e32 v63, v71, v39
	v_fma_f32 v54, v96, v47, -v2
	v_fma_f32 v55, v98, v126, -v3
	v_mul_f32_e32 v2, v93, v51
	s_waitcnt lgkmcnt(3)
	v_mul_f32_e32 v3, v95, v129
	v_fmac_f32_e32 v35, v78, v40
	v_mul_f32_e32 v71, v85, v50
	v_fma_f32 v78, v86, v43, -v16
	v_mul_f32_e32 v60, v97, v47
	s_waitcnt lgkmcnt(2)
	v_mul_f32_e32 v16, v105, v133
	v_fma_f32 v58, v92, v52, -v2
	v_fma_f32 v59, v94, v130, -v3
	v_mul_f32_e32 v2, v107, v127
	s_waitcnt lgkmcnt(1)
	v_mul_f32_e32 v3, v101, v137
	v_fmac_f32_e32 v71, v84, v49
	v_fmac_f32_e32 v60, v96, v46
	v_fma_f32 v46, v104, v134, -v16
	v_fma_f32 v47, v106, v128, -v2
	v_fma_f32 v49, v100, v138, -v3
	v_mul_f32_e32 v2, v103, v131
	v_mul_f32_e32 v3, v113, v135
	;; [unrolled: 1-line block ×3, first 2 shown]
	v_fmac_f32_e32 v63, v70, v38
	v_mul_f32_e32 v75, v87, v43
	v_mul_f32_e32 v57, v93, v52
	;; [unrolled: 1-line block ×3, first 2 shown]
	v_fma_f32 v52, v102, v132, -v2
	v_fma_f32 v38, v112, v136, -v3
	;; [unrolled: 1-line block ×3, first 2 shown]
	v_add_f32_e32 v2, v89, v91
	v_mul_f32_e32 v3, v109, v139
	v_add_f32_e32 v16, v12, v143
	v_fmac_f32_e32 v75, v86, v42
	v_fmac_f32_e32 v40, v114, v20
	v_fma_f32 v2, -0.5, v2, v12
	v_sub_f32_e32 v17, v88, v23
	v_fma_f32 v42, v108, v140, -v3
	v_add_f32_e32 v3, v16, v89
	v_sub_f32_e32 v18, v143, v89
	v_sub_f32_e32 v20, v81, v91
	v_add_f32_e32 v21, v143, v81
	s_waitcnt lgkmcnt(0)
	v_mul_f32_e32 v24, v111, v141
	v_fmac_f32_e32 v74, v68, v44
	v_fmamk_f32 v16, v17, 0xbf737871, v2
	v_sub_f32_e32 v19, v90, v22
	v_add_f32_e32 v3, v3, v91
	v_add_f32_e32 v26, v18, v20
	v_fma_f32 v18, -0.5, v21, v12
	v_fma_f32 v44, v110, v142, -v24
	v_fmac_f32_e32 v2, 0x3f737871, v17
	v_add_f32_e32 v24, v13, v88
	v_fmac_f32_e32 v16, 0xbf167918, v19
	v_add_f32_e32 v12, v3, v81
	v_fmamk_f32 v20, v19, 0x3f737871, v18
	v_sub_f32_e32 v3, v89, v143
	v_sub_f32_e32 v21, v91, v81
	v_fmac_f32_e32 v2, 0x3f167918, v19
	v_add_f32_e32 v27, v90, v22
	v_fmac_f32_e32 v18, 0xbf737871, v19
	v_add_f32_e32 v19, v24, v90
	v_add_f32_e32 v21, v3, v21
	v_sub_f32_e32 v28, v88, v90
	v_fma_f32 v3, -0.5, v27, v13
	v_sub_f32_e32 v27, v143, v81
	v_add_f32_e32 v24, v19, v22
	v_add_f32_e32 v19, v88, v23
	v_sub_f32_e32 v30, v23, v22
	v_fmac_f32_e32 v16, 0x3e9e377a, v26
	v_fmac_f32_e32 v20, 0xbf167918, v17
	;; [unrolled: 1-line block ×4, first 2 shown]
	v_fmamk_f32 v17, v27, 0x3f737871, v3
	v_sub_f32_e32 v26, v89, v91
	v_fma_f32 v19, -0.5, v19, v13
	v_add_f32_e32 v13, v24, v23
	v_add_f32_e32 v24, v28, v30
	v_fmac_f32_e32 v3, 0xbf737871, v27
	v_sub_f32_e32 v28, v90, v88
	v_sub_f32_e32 v22, v22, v23
	v_add_f32_e32 v23, v83, v29
	v_fmac_f32_e32 v17, 0x3f167918, v26
	v_fmac_f32_e32 v3, 0xbf167918, v26
	v_add_f32_e32 v30, v14, v80
	v_add_f32_e32 v28, v28, v22
	v_fma_f32 v22, -0.5, v23, v14
	v_sub_f32_e32 v31, v82, v33
	v_add_f32_e32 v36, v80, v25
	v_fmac_f32_e32 v20, 0x3e9e377a, v21
	v_fmac_f32_e32 v18, 0x3e9e377a, v21
	v_fmamk_f32 v21, v26, 0xbf737871, v19
	v_fmac_f32_e32 v17, 0x3e9e377a, v24
	v_fmac_f32_e32 v3, 0x3e9e377a, v24
	;; [unrolled: 1-line block ×3, first 2 shown]
	v_add_f32_e32 v23, v30, v83
	v_fmamk_f32 v24, v31, 0xbf737871, v22
	v_sub_f32_e32 v30, v144, v32
	v_sub_f32_e32 v26, v80, v83
	;; [unrolled: 1-line block ×3, first 2 shown]
	v_fma_f32 v14, -0.5, v36, v14
	v_fmac_f32_e32 v22, 0x3f737871, v31
	v_add_f32_e32 v36, v15, v82
	v_fmac_f32_e32 v21, 0x3f167918, v27
	v_fmac_f32_e32 v19, 0xbf167918, v27
	v_add_f32_e32 v23, v23, v29
	v_fmac_f32_e32 v24, 0xbf167918, v30
	v_add_f32_e32 v27, v26, v34
	v_fmamk_f32 v26, v30, 0x3f737871, v14
	v_fmac_f32_e32 v22, 0x3f167918, v30
	v_fmac_f32_e32 v14, 0xbf737871, v30
	v_add_f32_e32 v30, v36, v144
	v_fmac_f32_e32 v21, 0x3e9e377a, v28
	v_fmac_f32_e32 v19, 0x3e9e377a, v28
	v_add_f32_e32 v28, v23, v25
	v_fmac_f32_e32 v24, 0x3e9e377a, v27
	v_sub_f32_e32 v23, v83, v80
	v_sub_f32_e32 v34, v29, v25
	v_add_f32_e32 v37, v144, v32
	v_fmac_f32_e32 v22, 0x3e9e377a, v27
	v_add_f32_e32 v27, v30, v32
	v_add_f32_e32 v30, v82, v33
	v_fmac_f32_e32 v26, 0xbf167918, v31
	v_add_f32_e32 v34, v23, v34
	v_fma_f32 v23, -0.5, v37, v15
	v_sub_f32_e32 v36, v80, v25
	v_fmac_f32_e32 v14, 0x3f167918, v31
	v_sub_f32_e32 v37, v82, v144
	v_sub_f32_e32 v68, v33, v32
	v_fmac_f32_e32 v15, -0.5, v30
	v_sub_f32_e32 v30, v144, v82
	v_sub_f32_e32 v32, v32, v33
	v_fmac_f32_e32 v26, 0x3e9e377a, v34
	v_fmamk_f32 v25, v36, 0x3f737871, v23
	v_sub_f32_e32 v31, v83, v29
	v_fmac_f32_e32 v14, 0x3e9e377a, v34
	v_add_f32_e32 v29, v27, v33
	v_add_f32_e32 v34, v37, v68
	v_fmac_f32_e32 v23, 0xbf737871, v36
	v_add_f32_e32 v33, v65, v67
	v_add_f32_e32 v37, v30, v32
	;; [unrolled: 1-line block ×3, first 2 shown]
	v_fmac_f32_e32 v25, 0x3f167918, v31
	v_fmamk_f32 v27, v31, 0xbf737871, v15
	v_fmac_f32_e32 v23, 0xbf167918, v31
	v_fma_f32 v30, -0.5, v33, v8
	v_sub_f32_e32 v33, v64, v69
	v_fmac_f32_e32 v15, 0x3f737871, v31
	v_add_f32_e32 v31, v32, v65
	v_add_f32_e32 v79, v73, v35
	v_fmac_f32_e32 v25, 0x3e9e377a, v34
	v_fmac_f32_e32 v27, 0x3f167918, v36
	;; [unrolled: 1-line block ×3, first 2 shown]
	v_fmamk_f32 v32, v33, 0xbf737871, v30
	v_sub_f32_e32 v68, v66, v72
	v_sub_f32_e32 v34, v73, v65
	;; [unrolled: 1-line block ×3, first 2 shown]
	v_fmac_f32_e32 v15, 0xbf167918, v36
	v_add_f32_e32 v31, v31, v67
	v_fma_f32 v36, -0.5, v79, v8
	v_fmac_f32_e32 v30, 0x3f737871, v33
	v_add_f32_e32 v79, v9, v64
	v_fmac_f32_e32 v27, 0x3e9e377a, v37
	v_fmac_f32_e32 v32, 0xbf167918, v68
	v_add_f32_e32 v70, v34, v70
	v_fmac_f32_e32 v15, 0x3e9e377a, v37
	v_add_f32_e32 v34, v31, v35
	v_fmamk_f32 v8, v68, 0x3f737871, v36
	v_sub_f32_e32 v31, v65, v73
	v_sub_f32_e32 v37, v67, v35
	v_fmac_f32_e32 v30, 0x3f167918, v68
	v_add_f32_e32 v80, v66, v72
	v_fmac_f32_e32 v36, 0xbf737871, v68
	v_add_f32_e32 v68, v79, v66
	v_fmac_f32_e32 v8, 0xbf167918, v33
	v_add_f32_e32 v37, v31, v37
	v_fma_f32 v31, -0.5, v80, v9
	v_sub_f32_e32 v73, v73, v35
	v_fmac_f32_e32 v36, 0x3f167918, v33
	v_add_f32_e32 v35, v68, v72
	v_add_f32_e32 v68, v64, v69
	v_sub_f32_e32 v65, v65, v67
	v_sub_f32_e32 v67, v64, v66
	;; [unrolled: 1-line block ×4, first 2 shown]
	v_fmac_f32_e32 v32, 0x3e9e377a, v70
	v_fmac_f32_e32 v30, 0x3e9e377a, v70
	;; [unrolled: 1-line block ×3, first 2 shown]
	v_fmamk_f32 v33, v73, 0x3f737871, v31
	v_sub_f32_e32 v70, v69, v72
	v_fmac_f32_e32 v36, 0x3e9e377a, v37
	v_fma_f32 v37, -0.5, v68, v9
	v_add_f32_e32 v35, v35, v69
	v_fmac_f32_e32 v31, 0xbf737871, v73
	v_add_f32_e32 v68, v63, v71
	v_add_f32_e32 v69, v64, v66
	;; [unrolled: 1-line block ×3, first 2 shown]
	v_fmac_f32_e32 v33, 0x3f167918, v65
	v_add_f32_e32 v67, v67, v70
	v_fmamk_f32 v9, v65, 0xbf737871, v37
	v_fmac_f32_e32 v31, 0xbf167918, v65
	v_fma_f32 v64, -0.5, v68, v10
	v_sub_f32_e32 v72, v62, v78
	v_fmac_f32_e32 v37, 0x3f737871, v65
	v_add_f32_e32 v65, v66, v63
	v_fmac_f32_e32 v33, 0x3e9e377a, v67
	v_fmac_f32_e32 v9, 0x3f167918, v73
	;; [unrolled: 1-line block ×3, first 2 shown]
	v_fmamk_f32 v66, v72, 0xbf737871, v64
	v_sub_f32_e32 v67, v76, v77
	v_sub_f32_e32 v68, v74, v63
	;; [unrolled: 1-line block ×3, first 2 shown]
	v_add_f32_e32 v79, v74, v75
	v_fmac_f32_e32 v37, 0xbf167918, v73
	v_add_f32_e32 v65, v65, v71
	v_fmac_f32_e32 v64, 0x3f737871, v72
	v_fmac_f32_e32 v9, 0x3e9e377a, v69
	;; [unrolled: 1-line block ×3, first 2 shown]
	v_add_f32_e32 v73, v68, v70
	v_fma_f32 v10, -0.5, v79, v10
	v_fmac_f32_e32 v37, 0x3e9e377a, v69
	v_add_f32_e32 v68, v65, v75
	v_sub_f32_e32 v65, v63, v74
	v_sub_f32_e32 v69, v71, v75
	v_fmac_f32_e32 v64, 0x3f167918, v67
	v_add_f32_e32 v79, v11, v62
	v_add_f32_e32 v80, v76, v77
	v_mul_f32_e32 v56, v99, v126
	v_fmac_f32_e32 v66, 0x3e9e377a, v73
	v_fmamk_f32 v70, v67, 0x3f737871, v10
	v_add_f32_e32 v69, v65, v69
	v_fmac_f32_e32 v10, 0xbf737871, v67
	v_add_f32_e32 v67, v79, v76
	v_fma_f32 v65, -0.5, v80, v11
	v_sub_f32_e32 v74, v74, v75
	v_fmac_f32_e32 v64, 0x3e9e377a, v73
	v_add_f32_e32 v73, v62, v78
	v_fmac_f32_e32 v56, v98, v125
	v_mul_f32_e32 v61, v95, v130
	v_fmac_f32_e32 v70, 0xbf167918, v72
	v_fmac_f32_e32 v10, 0x3f167918, v72
	v_add_f32_e32 v72, v67, v77
	v_fmamk_f32 v67, v74, 0x3f737871, v65
	v_sub_f32_e32 v63, v63, v71
	v_sub_f32_e32 v71, v62, v76
	;; [unrolled: 1-line block ×3, first 2 shown]
	v_fmac_f32_e32 v11, -0.5, v73
	v_fmac_f32_e32 v65, 0xbf737871, v74
	v_sub_f32_e32 v62, v76, v62
	v_add_f32_e32 v76, v4, v60
	v_fmac_f32_e32 v57, v92, v51
	v_fmac_f32_e32 v61, v94, v129
	;; [unrolled: 1-line block ×4, first 2 shown]
	v_add_f32_e32 v69, v72, v78
	v_fmac_f32_e32 v67, 0x3f167918, v63
	v_add_f32_e32 v72, v71, v75
	v_fmamk_f32 v71, v63, 0xbf737871, v11
	v_sub_f32_e32 v73, v77, v78
	v_fmac_f32_e32 v65, 0xbf167918, v63
	v_fmac_f32_e32 v11, 0x3f737871, v63
	v_add_f32_e32 v63, v76, v56
	v_add_f32_e32 v75, v56, v57
	v_fmac_f32_e32 v71, 0x3f167918, v74
	v_add_f32_e32 v73, v62, v73
	v_add_f32_e32 v79, v60, v61
	v_fmac_f32_e32 v11, 0xbf167918, v74
	v_add_f32_e32 v63, v63, v57
	v_fma_f32 v62, -0.5, v75, v4
	v_sub_f32_e32 v75, v54, v59
	v_fmac_f32_e32 v71, 0x3e9e377a, v73
	v_sub_f32_e32 v77, v55, v58
	v_sub_f32_e32 v76, v60, v56
	;; [unrolled: 1-line block ×3, first 2 shown]
	v_fma_f32 v4, -0.5, v79, v4
	v_fmac_f32_e32 v11, 0x3e9e377a, v73
	v_add_f32_e32 v74, v63, v61
	v_sub_f32_e32 v63, v56, v60
	v_sub_f32_e32 v73, v57, v61
	v_add_f32_e32 v79, v5, v54
	v_add_f32_e32 v80, v55, v58
	v_mul_f32_e32 v51, v105, v134
	v_fmac_f32_e32 v67, 0x3e9e377a, v72
	v_fmac_f32_e32 v65, 0x3e9e377a, v72
	v_fmamk_f32 v72, v75, 0xbf737871, v62
	v_add_f32_e32 v78, v76, v78
	v_fmac_f32_e32 v62, 0x3f737871, v75
	v_fmamk_f32 v76, v77, 0x3f737871, v4
	v_add_f32_e32 v81, v63, v73
	v_fmac_f32_e32 v4, 0xbf737871, v77
	v_add_f32_e32 v73, v79, v55
	v_fma_f32 v63, -0.5, v80, v5
	v_sub_f32_e32 v60, v60, v61
	v_fmac_f32_e32 v51, v104, v133
	v_mul_f32_e32 v48, v107, v128
	v_mul_f32_e32 v50, v101, v138
	v_fmac_f32_e32 v72, 0xbf167918, v77
	v_fmac_f32_e32 v62, 0x3f167918, v77
	;; [unrolled: 1-line block ×4, first 2 shown]
	v_add_f32_e32 v61, v73, v58
	v_fmamk_f32 v73, v60, 0x3f737871, v63
	v_add_f32_e32 v75, v54, v59
	v_sub_f32_e32 v56, v56, v57
	v_sub_f32_e32 v57, v54, v55
	;; [unrolled: 1-line block ×3, first 2 shown]
	v_fmac_f32_e32 v63, 0xbf737871, v60
	v_mul_f32_e32 v53, v103, v132
	v_fmac_f32_e32 v48, v106, v127
	v_fmac_f32_e32 v50, v100, v137
	v_fma_f32 v5, -0.5, v75, v5
	v_add_f32_e32 v75, v61, v59
	v_fmac_f32_e32 v73, 0x3f167918, v56
	v_add_f32_e32 v57, v57, v77
	v_sub_f32_e32 v54, v55, v54
	v_sub_f32_e32 v55, v58, v59
	v_fmac_f32_e32 v63, 0xbf167918, v56
	v_add_f32_e32 v59, v6, v51
	v_fmac_f32_e32 v53, v102, v131
	v_fmamk_f32 v77, v56, 0xbf737871, v5
	v_fmac_f32_e32 v73, 0x3e9e377a, v57
	v_add_f32_e32 v58, v48, v50
	v_fmac_f32_e32 v63, 0x3e9e377a, v57
	v_fmac_f32_e32 v5, 0x3f737871, v56
	v_add_f32_e32 v57, v59, v48
	v_fmac_f32_e32 v72, 0x3e9e377a, v78
	v_fmac_f32_e32 v62, 0x3e9e377a, v78
	;; [unrolled: 1-line block ×3, first 2 shown]
	v_add_f32_e32 v55, v54, v55
	v_fma_f32 v54, -0.5, v58, v6
	v_sub_f32_e32 v61, v46, v52
	v_sub_f32_e32 v58, v51, v48
	;; [unrolled: 1-line block ×3, first 2 shown]
	v_add_f32_e32 v79, v51, v53
	v_fmac_f32_e32 v5, 0xbf167918, v60
	v_add_f32_e32 v57, v57, v50
	v_mul_f32_e32 v43, v109, v140
	v_fmac_f32_e32 v77, 0x3e9e377a, v55
	v_fmamk_f32 v56, v61, 0xbf737871, v54
	v_sub_f32_e32 v59, v47, v49
	v_add_f32_e32 v78, v58, v78
	v_fma_f32 v6, -0.5, v79, v6
	v_fmac_f32_e32 v5, 0x3e9e377a, v55
	v_add_f32_e32 v58, v57, v53
	v_fmac_f32_e32 v54, 0x3f737871, v61
	v_sub_f32_e32 v55, v48, v51
	v_sub_f32_e32 v57, v50, v53
	v_add_f32_e32 v79, v7, v46
	v_add_f32_e32 v80, v47, v49
	v_mul_f32_e32 v41, v113, v136
	v_fmac_f32_e32 v43, v108, v139
	v_fmac_f32_e32 v76, 0x3e9e377a, v81
	;; [unrolled: 1-line block ×4, first 2 shown]
	v_fmamk_f32 v60, v59, 0x3f737871, v6
	v_fmac_f32_e32 v54, 0x3f167918, v59
	v_add_f32_e32 v81, v55, v57
	v_fmac_f32_e32 v6, 0xbf737871, v59
	v_add_f32_e32 v57, v79, v47
	v_fma_f32 v55, -0.5, v80, v7
	v_sub_f32_e32 v51, v51, v53
	v_add_f32_e32 v59, v46, v52
	v_fmac_f32_e32 v41, v112, v135
	v_mul_f32_e32 v45, v111, v142
	v_fmac_f32_e32 v60, 0xbf167918, v61
	v_fmac_f32_e32 v6, 0x3f167918, v61
	v_add_f32_e32 v53, v57, v49
	v_fmamk_f32 v57, v51, 0x3f737871, v55
	v_sub_f32_e32 v48, v48, v50
	v_sub_f32_e32 v50, v46, v47
	;; [unrolled: 1-line block ×3, first 2 shown]
	v_fmac_f32_e32 v7, -0.5, v59
	v_fmac_f32_e32 v55, 0xbf737871, v51
	v_sub_f32_e32 v46, v47, v46
	v_sub_f32_e32 v47, v49, v52
	v_add_f32_e32 v49, v40, v43
	v_fmac_f32_e32 v45, v110, v141
	v_fmac_f32_e32 v57, 0x3f167918, v48
	v_add_f32_e32 v50, v50, v61
	v_fmamk_f32 v61, v48, 0xbf737871, v7
	v_fmac_f32_e32 v55, 0xbf167918, v48
	v_add_f32_e32 v47, v46, v47
	v_fmac_f32_e32 v7, 0x3f737871, v48
	v_add_f32_e32 v48, v0, v41
	v_fma_f32 v46, -0.5, v49, v0
	v_sub_f32_e32 v49, v38, v44
	v_fmac_f32_e32 v56, 0x3e9e377a, v78
	v_fmac_f32_e32 v54, 0x3e9e377a, v78
	v_add_f32_e32 v59, v53, v52
	v_fmac_f32_e32 v57, 0x3e9e377a, v50
	v_fmac_f32_e32 v61, 0x3f167918, v51
	;; [unrolled: 1-line block ×4, first 2 shown]
	v_add_f32_e32 v50, v48, v40
	v_fmamk_f32 v48, v49, 0xbf737871, v46
	v_sub_f32_e32 v51, v39, v42
	v_sub_f32_e32 v52, v41, v40
	;; [unrolled: 1-line block ×3, first 2 shown]
	v_fmac_f32_e32 v46, 0x3f737871, v49
	v_add_f32_e32 v78, v41, v45
	v_add_f32_e32 v50, v50, v43
	v_fmac_f32_e32 v48, 0xbf167918, v51
	v_add_f32_e32 v52, v52, v53
	v_fmac_f32_e32 v46, 0x3f167918, v51
	v_fma_f32 v0, -0.5, v78, v0
	v_sub_f32_e32 v53, v40, v41
	v_sub_f32_e32 v78, v43, v45
	v_fmac_f32_e32 v61, 0x3e9e377a, v47
	v_fmac_f32_e32 v7, 0x3e9e377a, v47
	v_add_f32_e32 v50, v50, v45
	v_fmac_f32_e32 v48, 0x3e9e377a, v52
	v_fmac_f32_e32 v46, 0x3e9e377a, v52
	v_fmamk_f32 v52, v51, 0x3f737871, v0
	v_add_f32_e32 v47, v39, v42
	v_fmac_f32_e32 v0, 0xbf737871, v51
	v_add_f32_e32 v51, v1, v38
	v_sub_f32_e32 v41, v41, v45
	v_add_f32_e32 v45, v53, v78
	v_add_f32_e32 v53, v38, v44
	v_fma_f32 v47, -0.5, v47, v1
	v_fmac_f32_e32 v52, 0xbf167918, v49
	v_fmac_f32_e32 v0, 0x3f167918, v49
	v_add_f32_e32 v51, v51, v39
	v_sub_f32_e32 v40, v40, v43
	v_fmac_f32_e32 v1, -0.5, v53
	v_fmamk_f32 v49, v41, 0x3f737871, v47
	v_fmac_f32_e32 v52, 0x3e9e377a, v45
	v_fmac_f32_e32 v0, 0x3e9e377a, v45
	v_add_f32_e32 v43, v51, v42
	v_sub_f32_e32 v45, v38, v39
	v_sub_f32_e32 v51, v44, v42
	v_fmac_f32_e32 v47, 0xbf737871, v41
	v_fmamk_f32 v53, v40, 0xbf737871, v1
	v_sub_f32_e32 v38, v39, v38
	v_sub_f32_e32 v39, v42, v44
	v_fmac_f32_e32 v1, 0x3f737871, v40
	v_fmac_f32_e32 v49, 0x3f167918, v40
	v_add_f32_e32 v42, v45, v51
	v_fmac_f32_e32 v47, 0xbf167918, v40
	v_fmac_f32_e32 v53, 0x3f167918, v41
	v_add_f32_e32 v38, v38, v39
	v_fmac_f32_e32 v1, 0xbf167918, v41
	v_fmac_f32_e32 v6, 0x3e9e377a, v81
	;; [unrolled: 1-line block ×3, first 2 shown]
	v_add_f32_e32 v51, v43, v44
	v_fmac_f32_e32 v49, 0x3e9e377a, v42
	v_fmac_f32_e32 v47, 0x3e9e377a, v42
	;; [unrolled: 1-line block ×4, first 2 shown]
	ds_write_b64 v255, v[16:17] offset:3136
	ds_write_b64 v255, v[20:21] offset:6272
	;; [unrolled: 1-line block ×4, first 2 shown]
	ds_write2_b64 v255, v[12:13], v[28:29] offset1:56
	ds_write_b64 v255, v[26:27] offset:6720
	ds_write_b64 v255, v[14:15] offset:9856
	ds_write_b64 v255, v[22:23] offset:12992
	ds_write2_b64 v119, v[24:25], v[32:33] offset0:192 offset1:248
	ds_write_b64 v255, v[36:37] offset:10304
	ds_write_b64 v255, v[30:31] offset:13440
	ds_write2_b64 v255, v[34:35], v[68:69] offset0:112 offset1:168
	ds_write2_b64 v118, v[8:9], v[70:71] offset0:128 offset1:184
	ds_write_b64 v255, v[10:11] offset:10752
	ds_write_b64 v255, v[64:65] offset:13888
	ds_write2_b64 v123, v[66:67], v[72:73] offset0:48 offset1:104
	ds_write_b64 v255, v[4:5] offset:11200
	ds_write_b64 v255, v[62:63] offset:14336
	ds_write2_b64 v122, v[74:75], v[58:59] offset0:96 offset1:152
	ds_write2_b64 v124, v[76:77], v[60:61] offset0:112 offset1:168
	ds_write_b64 v255, v[6:7] offset:11648
	ds_write_b64 v255, v[54:55] offset:14784
	;; [unrolled: 1-line block ×3, first 2 shown]
	ds_write2_b64 v123, v[56:57], v[48:49] offset0:160 offset1:216
	ds_write_b64 v255, v[52:53] offset:8960
	ds_write_b64 v255, v[0:1] offset:12096
	;; [unrolled: 1-line block ×3, first 2 shown]
	s_waitcnt lgkmcnt(0)
	s_barrier
	buffer_gl0_inv
	ds_read2_b64 v[2:5], v255 offset1:56
	s_clause 0x1
	buffer_load_dword v6, off, s[20:23], 0 offset:240
	buffer_load_dword v7, off, s[20:23], 0 offset:244
	v_mad_u64_u32 v[20:21], null, s8, v225, 0
	s_waitcnt vmcnt(0) lgkmcnt(0)
	v_mul_f32_e32 v0, v7, v3
	v_mul_f32_e32 v1, v7, v2
	v_fmac_f32_e32 v0, v6, v2
	v_fma_f32 v2, v6, v3, -v1
	v_add_nc_u32_e32 v6, 0xc00, v255
	ds_read2_b64 v[6:9], v6 offset0:106 offset1:162
	ds_read2_b64 v[10:13], v124 offset0:84 offset1:140
	s_clause 0x1
	buffer_load_dword v14, off, s[20:23], 0 offset:168
	buffer_load_dword v15, off, s[20:23], 0 offset:172
	v_cvt_f64_f32_e32 v[0:1], v0
	v_cvt_f64_f32_e32 v[2:3], v2
	s_waitcnt vmcnt(0) lgkmcnt(1)
	v_mul_f32_e32 v15, v254, v7
	v_mul_f32_e32 v16, v254, v6
	v_mul_f64 v[0:1], v[0:1], s[4:5]
	v_fma_f32 v7, v253, v7, -v16
	v_mul_f64 v[2:3], v[2:3], s[4:5]
	v_cvt_f64_f32_e32 v[25:26], v7
	v_cvt_f32_f64_e32 v0, v[0:1]
	v_cvt_f32_f64_e32 v1, v[2:3]
	v_mov_b32_e32 v17, v14
	v_mad_u64_u32 v[18:19], null, s10, v17, 0
	s_mul_i32 s10, s8, 0xffffd3d0
	v_mov_b32_e32 v14, v19
	s_waitcnt lgkmcnt(0)
	v_mul_f32_e32 v19, v252, v11
	v_mad_u64_u32 v[22:23], null, s11, v17, v[14:15]
	v_fmac_f32_e32 v15, v253, v6
	v_fmac_f32_e32 v19, v251, v10
	v_mov_b32_e32 v6, v21
	v_mul_f32_e32 v10, v252, v10
	v_cvt_f64_f32_e32 v[23:24], v15
	ds_read2_b64 v[14:17], v117 offset0:190 offset1:246
	v_cvt_f64_f32_e32 v[27:28], v19
	v_mov_b32_e32 v19, v22
	v_mad_u64_u32 v[6:7], null, s9, v225, v[6:7]
	v_fma_f32 v10, v251, v11, -v10
	v_lshlrev_b64 v[18:19], 3, v[18:19]
	v_cvt_f64_f32_e32 v[10:11], v10
	v_mov_b32_e32 v21, v6
	v_add_co_u32 v2, s0, s2, v18
	v_add_co_ci_u32_e64 v3, s0, s3, v19, s0
	v_lshlrev_b64 v[6:7], 3, v[20:21]
	v_mul_f64 v[20:21], v[25:26], s[4:5]
	s_waitcnt lgkmcnt(0)
	v_mul_f32_e32 v30, v250, v14
	v_mul_f64 v[18:19], v[23:24], s[4:5]
	v_mul_f32_e32 v29, v250, v15
	v_mul_f64 v[22:23], v[27:28], s[4:5]
	v_fma_f32 v24, v249, v15, -v30
	s_clause 0x1
	buffer_load_dword v30, off, s[20:23], 0 offset:192
	buffer_load_dword v31, off, s[20:23], 0 offset:196
	v_fmac_f32_e32 v29, v249, v14
	v_cvt_f64_f32_e32 v[24:25], v24
	v_cvt_f64_f32_e32 v[14:15], v29
	v_mul_f64 v[10:11], v[10:11], s[4:5]
	s_waitcnt vmcnt(0)
	v_mul_f32_e32 v26, v31, v5
	v_mul_f32_e32 v27, v31, v4
	v_fmac_f32_e32 v26, v30, v4
	v_add_co_u32 v4, s0, v2, v6
	v_fma_f32 v27, v30, v5, -v27
	v_add_co_ci_u32_e64 v5, s0, v3, v7, s0
	v_cvt_f64_f32_e32 v[6:7], v26
	s_mul_i32 s0, s9, 0x1ea
	v_cvt_f64_f32_e32 v[26:27], v27
	global_store_dwordx2 v[4:5], v[0:1], off
	s_clause 0x1
	buffer_load_dword v28, off, s[20:23], 0 offset:256
	buffer_load_dword v29, off, s[20:23], 0 offset:260
	v_cvt_f32_f64_e32 v0, v[18:19]
	v_cvt_f32_f64_e32 v19, v[10:11]
	v_mul_f64 v[10:11], v[14:15], s[4:5]
	v_mul_f64 v[14:15], v[24:25], s[4:5]
	v_cvt_f32_f64_e32 v1, v[20:21]
	v_cvt_f32_f64_e32 v18, v[22:23]
	s_add_i32 s1, s1, s0
	s_mul_i32 s0, s8, 0x1ea
	s_lshl_b64 s[2:3], s[0:1], 3
	s_mul_i32 s1, s9, 0xffffd3d0
	v_add_co_u32 v4, s0, v4, s2
	v_add_co_ci_u32_e64 v5, s0, s3, v5, s0
	v_mul_f64 v[20:21], v[6:7], s[4:5]
	v_mul_f64 v[22:23], v[26:27], s[4:5]
	v_cvt_f32_f64_e32 v20, v[20:21]
	v_cvt_f32_f64_e32 v21, v[22:23]
	s_waitcnt vmcnt(0)
	v_mul_f32_e32 v24, v29, v9
	v_mul_f32_e32 v25, v29, v8
	v_cvt_f32_f64_e32 v29, v[14:15]
	v_fmac_f32_e32 v24, v28, v8
	v_fma_f32 v6, v28, v9, -v25
	s_clause 0x1
	buffer_load_dword v27, off, s[20:23], 0 offset:248
	buffer_load_dword v28, off, s[20:23], 0 offset:252
	v_add_co_u32 v8, s0, v4, s2
	v_add_co_ci_u32_e64 v9, s0, s3, v5, s0
	v_cvt_f64_f32_e32 v[24:25], v24
	global_store_dwordx2 v[4:5], v[0:1], off
	global_store_dwordx2 v[8:9], v[18:19], off
	v_add_co_u32 v30, s0, v8, s2
	v_add_co_ci_u32_e64 v31, s0, s3, v9, s0
	s_mul_hi_u32 s0, s8, 0xffffd3d0
	s_sub_i32 s0, s0, s8
	s_add_i32 s1, s0, s1
	v_mul_f64 v[22:23], v[24:25], s[4:5]
	s_waitcnt vmcnt(0)
	v_mul_f32_e32 v7, v28, v13
	v_mul_f32_e32 v26, v28, v12
	v_cvt_f32_f64_e32 v28, v[10:11]
	ds_read2_b64 v[8:11], v123 offset0:90 offset1:146
	v_fmac_f32_e32 v7, v27, v12
	v_fma_f32 v12, v27, v13, -v26
	v_cvt_f64_f32_e32 v[26:27], v6
	v_cvt_f64_f32_e32 v[0:1], v7
	;; [unrolled: 1-line block ×3, first 2 shown]
	ds_read2_b64 v[4:7], v255 offset0:112 offset1:168
	ds_read2_b64 v[12:15], v121 offset0:68 offset1:124
	s_clause 0x3
	buffer_load_dword v34, off, s[20:23], 0 offset:232
	buffer_load_dword v35, off, s[20:23], 0 offset:236
	;; [unrolled: 1-line block ×4, first 2 shown]
	v_mul_f64 v[24:25], v[26:27], s[4:5]
	v_mul_f64 v[0:1], v[0:1], s[4:5]
	;; [unrolled: 1-line block ×3, first 2 shown]
	s_clause 0x3
	buffer_load_dword v18, off, s[20:23], 0 offset:216
	buffer_load_dword v19, off, s[20:23], 0 offset:220
	;; [unrolled: 1-line block ×4, first 2 shown]
	v_cvt_f32_f64_e32 v0, v[0:1]
	v_cvt_f32_f64_e32 v1, v[26:27]
	s_waitcnt vmcnt(6)
	v_mul_f32_e32 v32, v35, v17
	v_mul_f32_e32 v33, v35, v16
	s_waitcnt vmcnt(4) lgkmcnt(1)
	v_mul_f32_e32 v36, v39, v5
	v_fmac_f32_e32 v32, v34, v16
	v_fma_f32 v16, v34, v17, -v33
	v_fmac_f32_e32 v36, v38, v4
	v_mul_f32_e32 v4, v39, v4
	v_cvt_f64_f32_e32 v[32:33], v32
	v_cvt_f64_f32_e32 v[34:35], v16
	;; [unrolled: 1-line block ×3, first 2 shown]
	v_fma_f32 v4, v38, v5, -v4
	v_cvt_f64_f32_e32 v[4:5], v4
	s_waitcnt vmcnt(2)
	v_mul_f32_e32 v17, v19, v9
	s_waitcnt vmcnt(0) lgkmcnt(0)
	v_mul_f32_e32 v40, v43, v13
	v_mul_f32_e32 v16, v43, v12
	v_fmac_f32_e32 v17, v18, v8
	v_mul_f32_e32 v8, v19, v8
	v_fmac_f32_e32 v40, v42, v12
	v_fma_f32 v42, v42, v13, -v16
	v_cvt_f64_f32_e32 v[38:39], v17
	v_fma_f32 v41, v18, v9, -v8
	v_add_co_u32 v8, s0, v30, s10
	v_add_co_ci_u32_e64 v9, s0, s1, v31, s0
	ds_read2_b64 v[16:19], v120 offset0:46 offset1:102
	global_store_dwordx2 v[30:31], v[28:29], off
	global_store_dwordx2 v[8:9], v[20:21], off
	v_cvt_f32_f64_e32 v20, v[22:23]
	v_cvt_f32_f64_e32 v21, v[24:25]
	v_mul_f64 v[22:23], v[32:33], s[4:5]
	v_mul_f64 v[24:25], v[34:35], s[4:5]
	s_clause 0x1
	buffer_load_dword v33, off, s[20:23], 0 offset:184
	buffer_load_dword v34, off, s[20:23], 0 offset:188
	v_cvt_f64_f32_e32 v[12:13], v41
	v_cvt_f64_f32_e32 v[40:41], v40
	;; [unrolled: 1-line block ×3, first 2 shown]
	v_mul_f64 v[28:29], v[36:37], s[4:5]
	v_mul_f64 v[4:5], v[4:5], s[4:5]
	v_add_co_u32 v8, s0, v8, s2
	v_add_co_ci_u32_e64 v9, s0, s3, v9, s0
	v_mul_f64 v[26:27], v[38:39], s[4:5]
	v_add_co_u32 v36, s0, v8, s2
	v_add_co_ci_u32_e64 v37, s0, s3, v9, s0
	v_cvt_f32_f64_e32 v22, v[22:23]
	v_cvt_f32_f64_e32 v23, v[24:25]
	v_add_co_u32 v24, s0, v36, s2
	v_mul_f64 v[12:13], v[12:13], s[4:5]
	v_add_co_ci_u32_e64 v25, s0, s3, v37, s0
	v_cvt_f32_f64_e32 v28, v[28:29]
	v_cvt_f32_f64_e32 v29, v[4:5]
	v_add_co_u32 v38, s0, v24, s10
	v_add_co_ci_u32_e64 v39, s0, s1, v25, s0
	v_cvt_f32_f64_e32 v26, v[26:27]
	v_cvt_f32_f64_e32 v27, v[12:13]
	s_waitcnt vmcnt(0) lgkmcnt(0)
	v_mul_f32_e32 v32, v34, v17
	v_mul_f32_e32 v30, v34, v16
	v_fmac_f32_e32 v32, v33, v16
	v_fma_f32 v34, v33, v17, -v30
	v_mul_f64 v[16:17], v[40:41], s[4:5]
	s_clause 0x1
	buffer_load_dword v40, off, s[20:23], 0 offset:112
	buffer_load_dword v41, off, s[20:23], 0 offset:116
	v_mul_f64 v[30:31], v[42:43], s[4:5]
	v_cvt_f64_f32_e32 v[32:33], v32
	v_cvt_f64_f32_e32 v[34:35], v34
	v_cvt_f32_f64_e32 v12, v[16:17]
	v_cvt_f32_f64_e32 v13, v[30:31]
	v_mul_f64 v[16:17], v[32:33], s[4:5]
	v_mul_f64 v[30:31], v[34:35], s[4:5]
	s_waitcnt vmcnt(0)
	v_mul_f32_e32 v4, v41, v7
	v_mul_f32_e32 v5, v41, v6
	s_clause 0x3
	buffer_load_dword v41, off, s[20:23], 0 offset:208
	buffer_load_dword v42, off, s[20:23], 0 offset:212
	;; [unrolled: 1-line block ×4, first 2 shown]
	global_store_dwordx2 v[8:9], v[20:21], off
	v_fmac_f32_e32 v4, v40, v6
	v_cvt_f64_f32_e32 v[32:33], v4
	v_fma_f32 v4, v40, v7, -v5
	s_waitcnt vmcnt(2)
	v_mul_f32_e32 v6, v42, v11
	v_mul_f32_e32 v34, v42, v10
	s_waitcnt vmcnt(0)
	v_mul_f32_e32 v42, v45, v15
	v_mul_f32_e32 v7, v45, v14
	v_fmac_f32_e32 v6, v41, v10
	v_fma_f32 v5, v41, v11, -v34
	v_fmac_f32_e32 v42, v44, v14
	v_add_co_u32 v14, s0, v38, s2
	v_cvt_f64_f32_e32 v[10:11], v4
	v_fma_f32 v4, v44, v15, -v7
	v_add_co_ci_u32_e64 v15, s0, s3, v39, s0
	v_add_co_u32 v20, s0, v14, s2
	v_cvt_f64_f32_e32 v[34:35], v6
	v_add_co_ci_u32_e64 v21, s0, s3, v15, s0
	v_cvt_f64_f32_e32 v[40:41], v5
	v_cvt_f64_f32_e32 v[44:45], v4
	ds_read2_b64 v[4:7], v122 offset0:96 offset1:152
	global_store_dwordx2 v[36:37], v[0:1], off
	global_store_dwordx2 v[24:25], v[22:23], off
	;; [unrolled: 1-line block ×5, first 2 shown]
	v_cvt_f32_f64_e32 v0, v[16:17]
	v_cvt_f32_f64_e32 v1, v[30:31]
	s_clause 0x3
	buffer_load_dword v30, off, s[20:23], 0 offset:176
	buffer_load_dword v31, off, s[20:23], 0 offset:180
	;; [unrolled: 1-line block ×4, first 2 shown]
	v_mul_f64 v[12:13], v[32:33], s[4:5]
	v_cvt_f64_f32_e32 v[42:43], v42
	v_add_co_u32 v20, s0, v20, s2
	v_add_co_ci_u32_e64 v21, s0, s3, v21, s0
	v_mul_f64 v[14:15], v[10:11], s[4:5]
	v_add_co_u32 v38, s0, v20, s10
	v_add_co_ci_u32_e64 v39, s0, s1, v21, s0
	v_mul_f64 v[22:23], v[34:35], s[4:5]
	v_mul_f64 v[24:25], v[40:41], s[4:5]
	;; [unrolled: 1-line block ×3, first 2 shown]
	v_cvt_f32_f64_e32 v36, v[12:13]
	v_mul_f64 v[26:27], v[42:43], s[4:5]
	v_cvt_f32_f64_e32 v37, v[14:15]
	v_cvt_f32_f64_e32 v22, v[22:23]
	;; [unrolled: 1-line block ×3, first 2 shown]
	v_add_co_u32 v24, s0, v38, s2
	v_add_co_ci_u32_e64 v25, s0, s3, v39, s0
	v_cvt_f32_f64_e32 v26, v[26:27]
	v_cvt_f32_f64_e32 v27, v[28:29]
	s_waitcnt vmcnt(2)
	v_mul_f32_e32 v8, v31, v19
	v_mul_f32_e32 v9, v31, v18
	s_waitcnt vmcnt(0) lgkmcnt(0)
	v_mul_f32_e32 v10, v17, v5
	v_mul_f32_e32 v11, v17, v4
	v_fmac_f32_e32 v8, v30, v18
	v_fma_f32 v9, v30, v19, -v9
	v_fmac_f32_e32 v10, v16, v4
	v_fma_f32 v11, v16, v5, -v11
	v_add_nc_u32_e32 v16, 0x1400, v255
	v_cvt_f64_f32_e32 v[4:5], v8
	v_cvt_f64_f32_e32 v[30:31], v9
	;; [unrolled: 1-line block ×4, first 2 shown]
	ds_read2_b64 v[8:11], v16 offset0:74 offset1:130
	ds_read2_b64 v[12:15], v121 offset0:180 offset1:236
	;; [unrolled: 1-line block ×3, first 2 shown]
	s_clause 0x1
	buffer_load_dword v44, off, s[20:23], 0 offset:136
	buffer_load_dword v45, off, s[20:23], 0 offset:140
	v_mul_f64 v[4:5], v[4:5], s[4:5]
	v_mul_f64 v[28:29], v[30:31], s[4:5]
	;; [unrolled: 1-line block ×4, first 2 shown]
	s_waitcnt vmcnt(0) lgkmcnt(2)
	v_mul_f32_e32 v40, v45, v9
	v_fmac_f32_e32 v40, v44, v8
	v_mul_f32_e32 v8, v45, v8
	s_clause 0x1
	buffer_load_dword v45, off, s[20:23], 0 offset:144
	buffer_load_dword v46, off, s[20:23], 0 offset:148
	v_cvt_f64_f32_e32 v[34:35], v40
	v_fma_f32 v8, v44, v9, -v8
	v_cvt_f64_f32_e32 v[8:9], v8
	v_mul_f64 v[8:9], v[8:9], s[4:5]
	s_waitcnt vmcnt(0) lgkmcnt(1)
	v_mul_f32_e32 v41, v46, v13
	v_mul_f32_e32 v42, v46, v12
	s_clause 0x1
	buffer_load_dword v46, off, s[20:23], 0 offset:152
	buffer_load_dword v47, off, s[20:23], 0 offset:156
	global_store_dwordx2 v[20:21], v[0:1], off
	global_store_dwordx2 v[38:39], v[36:37], off
	;; [unrolled: 1-line block ×3, first 2 shown]
	v_cvt_f32_f64_e32 v22, v[30:31]
	v_cvt_f32_f64_e32 v23, v[32:33]
	;; [unrolled: 1-line block ×4, first 2 shown]
	v_mul_f64 v[4:5], v[34:35], s[4:5]
	v_cvt_f32_f64_e32 v35, v[8:9]
	v_fma_f32 v40, v45, v13, -v42
	v_fmac_f32_e32 v41, v45, v12
	v_cvt_f64_f32_e32 v[12:13], v41
	v_cvt_f64_f32_e32 v[40:41], v40
	v_cvt_f32_f64_e32 v34, v[4:5]
	v_mul_f64 v[12:13], v[12:13], s[4:5]
	v_cvt_f32_f64_e32 v12, v[12:13]
	s_waitcnt vmcnt(0) lgkmcnt(0)
	v_mul_f32_e32 v43, v47, v17
	v_fmac_f32_e32 v43, v46, v16
	v_mul_f32_e32 v16, v47, v16
	v_cvt_f64_f32_e32 v[42:43], v43
	v_fma_f32 v44, v46, v17, -v16
	v_add_co_u32 v16, s0, v24, s2
	v_add_co_ci_u32_e64 v17, s0, s3, v25, s0
	v_cvt_f64_f32_e32 v[0:1], v44
	v_mul_f64 v[24:25], v[40:41], s[4:5]
	global_store_dwordx2 v[16:17], v[26:27], off
	s_clause 0x1
	buffer_load_dword v31, off, s[20:23], 0 offset:120
	buffer_load_dword v32, off, s[20:23], 0 offset:124
	v_add_co_u32 v16, s0, v16, s2
	v_add_co_ci_u32_e64 v17, s0, s3, v17, s0
	v_mul_f64 v[26:27], v[42:43], s[4:5]
	v_mul_f64 v[0:1], v[0:1], s[4:5]
	v_cvt_f32_f64_e32 v13, v[24:25]
	v_cvt_f32_f64_e32 v26, v[26:27]
	;; [unrolled: 1-line block ×3, first 2 shown]
	s_waitcnt vmcnt(0)
	v_mul_f32_e32 v28, v32, v7
	v_mul_f32_e32 v29, v32, v6
	s_clause 0x1
	buffer_load_dword v32, off, s[20:23], 0 offset:128
	buffer_load_dword v33, off, s[20:23], 0 offset:132
	v_fmac_f32_e32 v28, v31, v6
	v_fma_f32 v29, v31, v7, -v29
	v_cvt_f64_f32_e32 v[6:7], v28
	v_cvt_f64_f32_e32 v[28:29], v29
	v_mul_f64 v[0:1], v[6:7], s[4:5]
	v_mul_f64 v[28:29], v[28:29], s[4:5]
	v_cvt_f32_f64_e32 v0, v[0:1]
	v_cvt_f32_f64_e32 v1, v[28:29]
	s_waitcnt vmcnt(0)
	v_mul_f32_e32 v30, v33, v11
	v_fmac_f32_e32 v30, v32, v10
	v_mul_f32_e32 v10, v33, v10
	v_cvt_f64_f32_e32 v[30:31], v30
	v_fma_f32 v10, v32, v11, -v10
	v_add_co_u32 v32, s0, v16, s10
	v_add_co_ci_u32_e64 v33, s0, s1, v17, s0
	v_cvt_f64_f32_e32 v[4:5], v10
	s_clause 0x1
	buffer_load_dword v9, off, s[20:23], 0 offset:96
	buffer_load_dword v10, off, s[20:23], 0 offset:100
	v_add_co_u32 v36, s0, v32, s2
	v_add_co_ci_u32_e64 v37, s0, s3, v33, s0
	v_add_co_u32 v24, s0, v36, s2
	v_add_co_ci_u32_e64 v25, s0, s3, v37, s0
	v_mul_f64 v[30:31], v[30:31], s[4:5]
	s_waitcnt vmcnt(0)
	v_mul_f32_e32 v6, v10, v15
	v_mul_f32_e32 v7, v10, v14
	s_clause 0x1
	buffer_load_dword v10, off, s[20:23], 0 offset:88
	buffer_load_dword v11, off, s[20:23], 0 offset:92
	v_fmac_f32_e32 v6, v9, v14
	v_fma_f32 v7, v9, v15, -v7
	v_mul_f64 v[14:15], v[4:5], s[4:5]
	v_cvt_f64_f32_e32 v[38:39], v6
	v_cvt_f64_f32_e32 v[40:41], v7
	ds_read2_b64 v[4:7], v119 offset0:80 offset1:136
	s_waitcnt vmcnt(0)
	v_mul_f32_e32 v8, v11, v19
	v_mul_f32_e32 v9, v11, v18
	v_fmac_f32_e32 v8, v10, v18
	v_add_co_u32 v18, s0, v24, s2
	v_cvt_f64_f32_e32 v[42:43], v8
	v_fma_f32 v8, v10, v19, -v9
	v_add_co_ci_u32_e64 v19, s0, s3, v25, s0
	v_cvt_f64_f32_e32 v[44:45], v8
	ds_read2_b64 v[8:11], v118 offset0:58 offset1:114
	global_store_dwordx2 v[16:17], v[20:21], off
	global_store_dwordx2 v[32:33], v[22:23], off
	;; [unrolled: 1-line block ×5, first 2 shown]
	s_clause 0x1
	buffer_load_dword v32, off, s[20:23], 0 offset:72
	buffer_load_dword v33, off, s[20:23], 0 offset:76
	v_add_co_u32 v16, s0, v18, s10
	v_add_co_ci_u32_e64 v17, s0, s1, v19, s0
	v_cvt_f32_f64_e32 v18, v[30:31]
	v_cvt_f32_f64_e32 v19, v[14:15]
	v_mul_f64 v[20:21], v[38:39], s[4:5]
	v_mul_f64 v[22:23], v[40:41], s[4:5]
	;; [unrolled: 1-line block ×4, first 2 shown]
	v_cvt_f32_f64_e32 v20, v[20:21]
	v_cvt_f32_f64_e32 v21, v[22:23]
	;; [unrolled: 1-line block ×4, first 2 shown]
	s_waitcnt vmcnt(0) lgkmcnt(1)
	v_mul_f32_e32 v12, v33, v5
	v_fmac_f32_e32 v12, v32, v4
	v_mul_f32_e32 v4, v33, v4
	s_clause 0x1
	buffer_load_dword v33, off, s[20:23], 0 offset:80
	buffer_load_dword v34, off, s[20:23], 0 offset:84
	global_store_dwordx2 v[16:17], v[0:1], off
	v_cvt_f64_f32_e32 v[28:29], v12
	v_fma_f32 v32, v32, v5, -v4
	v_add_co_u32 v4, s0, v16, s2
	v_add_co_ci_u32_e64 v5, s0, s3, v17, s0
	ds_read2_b64 v[12:15], v117 offset0:36 offset1:92
	v_cvt_f64_f32_e32 v[0:1], v32
	global_store_dwordx2 v[4:5], v[18:19], off
	ds_read2_b64 v[16:19], v116 offset0:14 offset1:70
	v_add_co_u32 v4, s0, v4, s2
	v_add_co_ci_u32_e64 v5, s0, s3, v5, s0
	v_add_co_u32 v24, s0, v4, s2
	v_add_co_ci_u32_e64 v25, s0, s3, v5, s0
	v_mul_f64 v[26:27], v[28:29], s[4:5]
	v_mul_f64 v[0:1], v[0:1], s[4:5]
	s_waitcnt vmcnt(0) lgkmcnt(2)
	v_mul_f32_e32 v30, v34, v9
	v_mul_f32_e32 v31, v34, v8
	s_clause 0x3
	buffer_load_dword v34, off, s[20:23], 0 offset:64
	buffer_load_dword v35, off, s[20:23], 0 offset:68
	;; [unrolled: 1-line block ×4, first 2 shown]
	v_fmac_f32_e32 v30, v33, v8
	v_fma_f32 v31, v33, v9, -v31
	v_cvt_f64_f32_e32 v[8:9], v30
	v_cvt_f64_f32_e32 v[30:31], v31
	v_mul_f64 v[8:9], v[8:9], s[4:5]
	v_cvt_f32_f64_e32 v8, v[8:9]
	s_waitcnt vmcnt(2) lgkmcnt(1)
	v_mul_f32_e32 v32, v35, v13
	v_mul_f32_e32 v33, v35, v12
	v_fmac_f32_e32 v32, v34, v12
	v_fma_f32 v33, v34, v13, -v33
	v_mul_f64 v[12:13], v[30:31], s[4:5]
	v_cvt_f64_f32_e32 v[28:29], v32
	v_cvt_f64_f32_e32 v[30:31], v33
	s_waitcnt vmcnt(0) lgkmcnt(0)
	v_mul_f32_e32 v32, v38, v17
	v_mul_f32_e32 v33, v38, v16
	s_clause 0x3
	buffer_load_dword v38, off, s[20:23], 0 offset:56
	buffer_load_dword v39, off, s[20:23], 0 offset:60
	;; [unrolled: 1-line block ×4, first 2 shown]
	v_fmac_f32_e32 v32, v37, v16
	v_fma_f32 v16, v37, v17, -v33
	v_cvt_f64_f32_e32 v[16:17], v16
	v_cvt_f32_f64_e32 v9, v[12:13]
	v_mul_f64 v[16:17], v[16:17], s[4:5]
	s_waitcnt vmcnt(2)
	v_mul_f32_e32 v34, v39, v7
	s_waitcnt vmcnt(0)
	v_mul_f32_e32 v36, v43, v11
	v_mul_f32_e32 v35, v39, v6
	v_fmac_f32_e32 v34, v38, v6
	v_fmac_f32_e32 v36, v42, v10
	v_mul_f32_e32 v10, v43, v10
	s_clause 0x1
	buffer_load_dword v43, off, s[20:23], 0 offset:32
	buffer_load_dword v44, off, s[20:23], 0 offset:36
	v_fma_f32 v35, v38, v7, -v35
	v_cvt_f64_f32_e32 v[6:7], v32
	v_cvt_f64_f32_e32 v[32:33], v34
	v_fma_f32 v10, v42, v11, -v10
	v_cvt_f64_f32_e32 v[36:37], v36
	v_cvt_f64_f32_e32 v[34:35], v35
	;; [unrolled: 1-line block ×3, first 2 shown]
	v_mul_f64 v[6:7], v[6:7], s[4:5]
	v_mul_f64 v[12:13], v[32:33], s[4:5]
	;; [unrolled: 1-line block ×3, first 2 shown]
	v_cvt_f32_f64_e32 v6, v[6:7]
	v_cvt_f32_f64_e32 v7, v[16:17]
	;; [unrolled: 1-line block ×3, first 2 shown]
	s_waitcnt vmcnt(0)
	v_mul_f32_e32 v38, v44, v15
	v_mul_f32_e32 v39, v44, v14
	s_clause 0x1
	buffer_load_dword v44, off, s[20:23], 0 offset:40
	buffer_load_dword v45, off, s[20:23], 0 offset:44
	global_store_dwordx2 v[4:5], v[20:21], off
	global_store_dwordx2 v[24:25], v[22:23], off
	v_cvt_f32_f64_e32 v5, v[0:1]
	v_fmac_f32_e32 v38, v43, v14
	v_fma_f32 v39, v43, v15, -v39
	v_mul_f64 v[0:1], v[28:29], s[4:5]
	v_mul_f64 v[20:21], v[30:31], s[4:5]
	v_add_co_u32 v22, s0, v24, s10
	v_cvt_f64_f32_e32 v[14:15], v38
	v_add_co_ci_u32_e64 v23, s0, s1, v25, s0
	v_mul_f64 v[24:25], v[34:35], s[4:5]
	v_cvt_f32_f64_e32 v4, v[26:27]
	v_mul_f64 v[26:27], v[36:37], s[4:5]
	v_add_co_u32 v32, s0, v22, s2
	v_add_co_ci_u32_e64 v33, s0, s3, v23, s0
	v_cvt_f32_f64_e32 v0, v[0:1]
	v_cvt_f32_f64_e32 v1, v[20:21]
	v_add_co_u32 v20, s0, v32, s2
	v_mul_f64 v[14:15], v[14:15], s[4:5]
	v_add_co_ci_u32_e64 v21, s0, s3, v33, s0
	v_add_co_u32 v16, s0, v20, s2
	v_cvt_f32_f64_e32 v13, v[24:25]
	v_add_co_ci_u32_e64 v17, s0, s3, v21, s0
	v_cvt_f32_f64_e32 v25, v[10:11]
	v_cvt_f32_f64_e32 v24, v[26:27]
	global_store_dwordx2 v[22:23], v[4:5], off
	global_store_dwordx2 v[32:33], v[8:9], off
	;; [unrolled: 1-line block ×3, first 2 shown]
	v_cvt_f32_f64_e32 v10, v[14:15]
	s_waitcnt vmcnt(0)
	v_mul_f32_e32 v40, v45, v19
	v_mul_f32_e32 v41, v45, v18
	v_fmac_f32_e32 v40, v44, v18
	v_fma_f32 v41, v44, v19, -v41
	v_cvt_f64_f32_e32 v[18:19], v39
	v_cvt_f64_f32_e32 v[38:39], v40
	;; [unrolled: 1-line block ×3, first 2 shown]
	v_mul_f64 v[18:19], v[18:19], s[4:5]
	v_mul_f64 v[28:29], v[38:39], s[4:5]
	;; [unrolled: 1-line block ×3, first 2 shown]
	v_cvt_f32_f64_e32 v11, v[18:19]
	v_add_co_u32 v18, s0, v16, s10
	v_add_co_ci_u32_e64 v19, s0, s1, v17, s0
	v_cvt_f32_f64_e32 v14, v[28:29]
	v_cvt_f32_f64_e32 v15, v[30:31]
	v_add_co_u32 v4, s0, v18, s2
	v_add_co_ci_u32_e64 v5, s0, s3, v19, s0
	v_add_co_u32 v8, s0, v4, s2
	v_add_co_ci_u32_e64 v9, s0, s3, v5, s0
	;; [unrolled: 2-line block ×3, first 2 shown]
	global_store_dwordx2 v[16:17], v[6:7], off
	global_store_dwordx2 v[18:19], v[12:13], off
	;; [unrolled: 1-line block ×5, first 2 shown]
	s_and_b32 exec_lo, exec_lo, vcc_lo
	s_cbranch_execz .LBB0_23
; %bb.22:
	v_lshlrev_b32_e32 v4, 3, v188
	v_mad_u64_u32 v[0:1], null, 0xffffe320, s8, v[0:1]
	s_mul_i32 s0, s9, 0xffffe320
	s_sub_i32 s0, s0, s8
	global_load_dwordx2 v[4:5], v4, s[6:7]
	ds_read_b64 v[6:7], v255 offset:3584
	ds_read_b64 v[8:9], v255 offset:7504
	;; [unrolled: 1-line block ×4, first 2 shown]
	v_add_nc_u32_e32 v1, s0, v1
	s_waitcnt vmcnt(0) lgkmcnt(3)
	v_mul_f32_e32 v14, v7, v5
	v_mul_f32_e32 v5, v6, v5
	v_fmac_f32_e32 v14, v6, v4
	v_fma_f32 v6, v4, v7, -v5
	v_cvt_f64_f32_e32 v[4:5], v14
	v_cvt_f64_f32_e32 v[6:7], v6
	v_mad_u64_u32 v[14:15], null, s8, v188, 0
	v_mad_u64_u32 v[15:16], null, s9, v188, v[15:16]
	v_mul_f64 v[4:5], v[4:5], s[4:5]
	v_mul_f64 v[6:7], v[6:7], s[4:5]
	v_cvt_f32_f64_e32 v4, v[4:5]
	v_cvt_f32_f64_e32 v5, v[6:7]
	v_lshlrev_b64 v[6:7], 3, v[14:15]
	v_add_co_u32 v2, vcc_lo, v2, v6
	v_add_co_ci_u32_e32 v3, vcc_lo, v3, v7, vcc_lo
	global_store_dwordx2 v[2:3], v[4:5], off
	s_clause 0x1
	buffer_load_dword v2, off, s[20:23], 0 offset:8
	buffer_load_dword v3, off, s[20:23], 0 offset:12
	s_waitcnt vmcnt(0)
	global_load_dwordx2 v[2:3], v[2:3], off offset:1360
	s_waitcnt vmcnt(0) lgkmcnt(2)
	v_mul_f32_e32 v4, v9, v3
	v_mul_f32_e32 v3, v8, v3
	v_fmac_f32_e32 v4, v8, v2
	v_fma_f32 v5, v2, v9, -v3
	v_cvt_f64_f32_e32 v[2:3], v4
	v_cvt_f64_f32_e32 v[4:5], v5
	v_mul_f64 v[2:3], v[2:3], s[4:5]
	v_mul_f64 v[4:5], v[4:5], s[4:5]
	v_cvt_f32_f64_e32 v2, v[2:3]
	v_cvt_f32_f64_e32 v3, v[4:5]
	global_store_dwordx2 v[0:1], v[2:3], off
	s_clause 0x1
	buffer_load_dword v2, off, s[20:23], 0
	buffer_load_dword v3, off, s[20:23], 0 offset:4
	v_add_co_u32 v0, vcc_lo, v0, s2
	v_add_co_ci_u32_e32 v1, vcc_lo, s3, v1, vcc_lo
	s_waitcnt vmcnt(0)
	global_load_dwordx2 v[2:3], v[2:3], off offset:1184
	s_waitcnt vmcnt(0) lgkmcnt(1)
	v_mul_f32_e32 v4, v11, v3
	v_mul_f32_e32 v3, v10, v3
	v_fmac_f32_e32 v4, v10, v2
	v_fma_f32 v5, v2, v11, -v3
	v_cvt_f64_f32_e32 v[2:3], v4
	v_cvt_f64_f32_e32 v[4:5], v5
	v_mul_f64 v[2:3], v[2:3], s[4:5]
	v_mul_f64 v[4:5], v[4:5], s[4:5]
	v_cvt_f32_f64_e32 v2, v[2:3]
	v_cvt_f32_f64_e32 v3, v[4:5]
	global_store_dwordx2 v[0:1], v[2:3], off
	s_clause 0x1
	buffer_load_dword v2, off, s[20:23], 0 offset:16
	buffer_load_dword v3, off, s[20:23], 0 offset:20
	v_add_co_u32 v0, vcc_lo, v0, s2
	v_add_co_ci_u32_e32 v1, vcc_lo, s3, v1, vcc_lo
	s_waitcnt vmcnt(0)
	global_load_dwordx2 v[2:3], v[2:3], off offset:1008
	s_waitcnt vmcnt(0) lgkmcnt(0)
	v_mul_f32_e32 v4, v13, v3
	v_mul_f32_e32 v3, v12, v3
	v_fmac_f32_e32 v4, v12, v2
	v_fma_f32 v5, v2, v13, -v3
	v_cvt_f64_f32_e32 v[2:3], v4
	v_cvt_f64_f32_e32 v[4:5], v5
	v_mul_f64 v[2:3], v[2:3], s[4:5]
	v_mul_f64 v[4:5], v[4:5], s[4:5]
	v_cvt_f32_f64_e32 v2, v[2:3]
	v_cvt_f32_f64_e32 v3, v[4:5]
	global_store_dwordx2 v[0:1], v[2:3], off
.LBB0_23:
	s_endpgm
	.section	.rodata,"a",@progbits
	.p2align	6, 0x0
	.amdhsa_kernel bluestein_single_fwd_len1960_dim1_sp_op_CI_CI
		.amdhsa_group_segment_fixed_size 15680
		.amdhsa_private_segment_fixed_size 400
		.amdhsa_kernarg_size 104
		.amdhsa_user_sgpr_count 6
		.amdhsa_user_sgpr_private_segment_buffer 1
		.amdhsa_user_sgpr_dispatch_ptr 0
		.amdhsa_user_sgpr_queue_ptr 0
		.amdhsa_user_sgpr_kernarg_segment_ptr 1
		.amdhsa_user_sgpr_dispatch_id 0
		.amdhsa_user_sgpr_flat_scratch_init 0
		.amdhsa_user_sgpr_private_segment_size 0
		.amdhsa_wavefront_size32 1
		.amdhsa_uses_dynamic_stack 0
		.amdhsa_system_sgpr_private_segment_wavefront_offset 1
		.amdhsa_system_sgpr_workgroup_id_x 1
		.amdhsa_system_sgpr_workgroup_id_y 0
		.amdhsa_system_sgpr_workgroup_id_z 0
		.amdhsa_system_sgpr_workgroup_info 0
		.amdhsa_system_vgpr_workitem_id 0
		.amdhsa_next_free_vgpr 256
		.amdhsa_next_free_sgpr 24
		.amdhsa_reserve_vcc 1
		.amdhsa_reserve_flat_scratch 0
		.amdhsa_float_round_mode_32 0
		.amdhsa_float_round_mode_16_64 0
		.amdhsa_float_denorm_mode_32 3
		.amdhsa_float_denorm_mode_16_64 3
		.amdhsa_dx10_clamp 1
		.amdhsa_ieee_mode 1
		.amdhsa_fp16_overflow 0
		.amdhsa_workgroup_processor_mode 1
		.amdhsa_memory_ordered 1
		.amdhsa_forward_progress 0
		.amdhsa_shared_vgpr_count 0
		.amdhsa_exception_fp_ieee_invalid_op 0
		.amdhsa_exception_fp_denorm_src 0
		.amdhsa_exception_fp_ieee_div_zero 0
		.amdhsa_exception_fp_ieee_overflow 0
		.amdhsa_exception_fp_ieee_underflow 0
		.amdhsa_exception_fp_ieee_inexact 0
		.amdhsa_exception_int_div_zero 0
	.end_amdhsa_kernel
	.text
.Lfunc_end0:
	.size	bluestein_single_fwd_len1960_dim1_sp_op_CI_CI, .Lfunc_end0-bluestein_single_fwd_len1960_dim1_sp_op_CI_CI
                                        ; -- End function
	.section	.AMDGPU.csdata,"",@progbits
; Kernel info:
; codeLenInByte = 37308
; NumSgprs: 26
; NumVgprs: 256
; ScratchSize: 400
; MemoryBound: 0
; FloatMode: 240
; IeeeMode: 1
; LDSByteSize: 15680 bytes/workgroup (compile time only)
; SGPRBlocks: 3
; VGPRBlocks: 31
; NumSGPRsForWavesPerEU: 26
; NumVGPRsForWavesPerEU: 256
; Occupancy: 4
; WaveLimiterHint : 1
; COMPUTE_PGM_RSRC2:SCRATCH_EN: 1
; COMPUTE_PGM_RSRC2:USER_SGPR: 6
; COMPUTE_PGM_RSRC2:TRAP_HANDLER: 0
; COMPUTE_PGM_RSRC2:TGID_X_EN: 1
; COMPUTE_PGM_RSRC2:TGID_Y_EN: 0
; COMPUTE_PGM_RSRC2:TGID_Z_EN: 0
; COMPUTE_PGM_RSRC2:TIDIG_COMP_CNT: 0
	.text
	.p2alignl 6, 3214868480
	.fill 48, 4, 3214868480
	.type	__hip_cuid_55a323bf92787d9e,@object ; @__hip_cuid_55a323bf92787d9e
	.section	.bss,"aw",@nobits
	.globl	__hip_cuid_55a323bf92787d9e
__hip_cuid_55a323bf92787d9e:
	.byte	0                               ; 0x0
	.size	__hip_cuid_55a323bf92787d9e, 1

	.ident	"AMD clang version 19.0.0git (https://github.com/RadeonOpenCompute/llvm-project roc-6.4.0 25133 c7fe45cf4b819c5991fe208aaa96edf142730f1d)"
	.section	".note.GNU-stack","",@progbits
	.addrsig
	.addrsig_sym __hip_cuid_55a323bf92787d9e
	.amdgpu_metadata
---
amdhsa.kernels:
  - .args:
      - .actual_access:  read_only
        .address_space:  global
        .offset:         0
        .size:           8
        .value_kind:     global_buffer
      - .actual_access:  read_only
        .address_space:  global
        .offset:         8
        .size:           8
        .value_kind:     global_buffer
      - .actual_access:  read_only
        .address_space:  global
        .offset:         16
        .size:           8
        .value_kind:     global_buffer
      - .actual_access:  read_only
        .address_space:  global
        .offset:         24
        .size:           8
        .value_kind:     global_buffer
      - .actual_access:  read_only
        .address_space:  global
        .offset:         32
        .size:           8
        .value_kind:     global_buffer
      - .offset:         40
        .size:           8
        .value_kind:     by_value
      - .address_space:  global
        .offset:         48
        .size:           8
        .value_kind:     global_buffer
      - .address_space:  global
        .offset:         56
        .size:           8
        .value_kind:     global_buffer
      - .address_space:  global
        .offset:         64
        .size:           8
        .value_kind:     global_buffer
      - .address_space:  global
        .offset:         72
        .size:           8
        .value_kind:     global_buffer
      - .offset:         80
        .size:           4
        .value_kind:     by_value
      - .address_space:  global
        .offset:         88
        .size:           8
        .value_kind:     global_buffer
      - .address_space:  global
        .offset:         96
        .size:           8
        .value_kind:     global_buffer
    .group_segment_fixed_size: 15680
    .kernarg_segment_align: 8
    .kernarg_segment_size: 104
    .language:       OpenCL C
    .language_version:
      - 2
      - 0
    .max_flat_workgroup_size: 56
    .name:           bluestein_single_fwd_len1960_dim1_sp_op_CI_CI
    .private_segment_fixed_size: 400
    .sgpr_count:     26
    .sgpr_spill_count: 0
    .symbol:         bluestein_single_fwd_len1960_dim1_sp_op_CI_CI.kd
    .uniform_work_group_size: 1
    .uses_dynamic_stack: false
    .vgpr_count:     256
    .vgpr_spill_count: 99
    .wavefront_size: 32
    .workgroup_processor_mode: 1
amdhsa.target:   amdgcn-amd-amdhsa--gfx1030
amdhsa.version:
  - 1
  - 2
...

	.end_amdgpu_metadata
